;; amdgpu-corpus repo=LLNL/RAJAPerf kind=compiled arch=gfx1100 opt=O3
	.text
	.amdgcn_target "amdgcn-amd-amdhsa--gfx1100"
	.amdhsa_code_object_version 6
	.section	.text._ZN8rajaperf9polybench9poly_adi1ILm256EEEvldddddPdS2_S2_S2_,"axG",@progbits,_ZN8rajaperf9polybench9poly_adi1ILm256EEEvldddddPdS2_S2_S2_,comdat
	.protected	_ZN8rajaperf9polybench9poly_adi1ILm256EEEvldddddPdS2_S2_S2_ ; -- Begin function _ZN8rajaperf9polybench9poly_adi1ILm256EEEvldddddPdS2_S2_S2_
	.globl	_ZN8rajaperf9polybench9poly_adi1ILm256EEEvldddddPdS2_S2_S2_
	.p2align	8
	.type	_ZN8rajaperf9polybench9poly_adi1ILm256EEEvldddddPdS2_S2_S2_,@function
_ZN8rajaperf9polybench9poly_adi1ILm256EEEvldddddPdS2_S2_S2_: ; @_ZN8rajaperf9polybench9poly_adi1ILm256EEEvldddddPdS2_S2_S2_
; %bb.0:
	s_mov_b32 s26, s15
	s_load_b512 s[4:19], s[0:1], 0x0
	v_add_nc_u32_e32 v1, 1, v0
	s_mov_b32 s27, 0
	s_mov_b32 s20, exec_lo
	s_lshl_b64 s[24:25], s[26:27], 8
	s_delay_alu instid0(VALU_DEP_1) | instid1(SALU_CYCLE_1)
	v_add_co_u32 v1, s2, s24, v1
	s_delay_alu instid0(VALU_DEP_1)
	v_add_co_ci_u32_e64 v2, null, s25, 0, s2
	s_waitcnt lgkmcnt(0)
	s_add_u32 s2, s4, -1
	s_addc_u32 s3, s5, -1
	s_delay_alu instid0(VALU_DEP_1) | instid1(SALU_CYCLE_1)
	v_cmpx_gt_i64_e64 s[2:3], v[1:2]
	s_cbranch_execz .LBB0_12
; %bb.1:
	s_load_b128 s[20:23], s[0:1], 0x40
	v_mul_lo_u32 v4, v2, s4
	v_mul_lo_u32 v7, v1, s5
	v_mad_u64_u32 v[5:6], null, v1, s4, 0
	v_add_co_u32 v1, s0, s24, v0
	s_delay_alu instid0(VALU_DEP_1)
	v_add_co_ci_u32_e64 v2, null, s25, 0, s0
	v_mov_b32_e32 v3, 0
	v_cmp_lt_i64_e64 s1, s[4:5], 3
	v_add3_u32 v6, v6, v7, v4
	v_mov_b32_e32 v4, 0x3ff00000
	v_lshlrev_b64 v[1:2], 3, v[1:2]
	v_mov_b32_e32 v9, v3
	v_mov_b32_e32 v10, v3
	v_lshlrev_b64 v[7:8], 3, v[5:6]
	s_mov_b32 s0, -1
	s_mul_i32 s30, s2, s5
	s_mul_hi_u32 s33, s2, s4
	s_waitcnt lgkmcnt(0)
	v_add_co_u32 v5, vcc_lo, s22, v1
	v_add_co_ci_u32_e32 v6, vcc_lo, s23, v2, vcc_lo
	v_add_co_u32 v11, vcc_lo, s16, v7
	v_add_co_ci_u32_e32 v12, vcc_lo, s17, v8, vcc_lo
	s_mul_i32 s31, s3, s4
	global_store_b64 v[5:6], v[3:4], off offset:8
	global_store_b64 v[11:12], v[9:10], off
	global_load_b64 v[9:10], v[5:6], off offset:8
	v_add_co_u32 v11, vcc_lo, s18, v7
	v_add_co_ci_u32_e32 v12, vcc_lo, s19, v8, vcc_lo
	s_mul_i32 s24, s2, s4
	s_and_b32 vcc_lo, exec_lo, s1
	s_waitcnt vmcnt(0)
	global_store_b64 v[11:12], v[9:10], off
	s_cbranch_vccz .LBB0_3
; %bb.2:
	s_add_i32 s0, s33, s30
	s_delay_alu instid0(SALU_CYCLE_1) | instskip(NEXT) | instid1(SALU_CYCLE_1)
	s_add_i32 s25, s0, s31
	s_lshl_b64 s[0:1], s[24:25], 3
	s_delay_alu instid0(SALU_CYCLE_1)
	s_add_u32 s0, s22, s0
	s_addc_u32 s1, s23, s1
	v_add_co_u32 v9, vcc_lo, s0, v1
	v_add_co_ci_u32_e32 v10, vcc_lo, s1, v2, vcc_lo
	s_mov_b32 s0, 0
	global_store_b64 v[9:10], v[3:4], off offset:8
.LBB0_3:
	s_and_not1_b32 vcc_lo, exec_lo, s0
	s_cbranch_vccnz .LBB0_12
; %bb.4:
	v_lshlrev_b32_e32 v19, 3, v0
	s_lshl_b64 s[26:27], s[26:27], 11
	v_fma_f64 v[3:4], s[12:13], 2.0, 1.0
	s_delay_alu instid0(VALU_DEP_2) | instskip(NEXT) | instid1(VALU_DEP_1)
	v_or_b32_e32 v9, s26, v19
	v_add_co_u32 v9, s0, v9, 16
	s_delay_alu instid0(VALU_DEP_1) | instskip(NEXT) | instid1(VALU_DEP_2)
	v_add_co_ci_u32_e64 v10, null, s27, 0, s0
	v_mul_lo_u32 v17, v9, s5
	v_mad_u64_u32 v[15:16], null, v9, s4, s[18:19]
	s_delay_alu instid0(VALU_DEP_3)
	v_mul_lo_u32 v18, v10, s4
	v_mad_u64_u32 v[13:14], null, v9, s4, s[16:17]
	v_add_co_u32 v9, vcc_lo, s16, v7
	v_add_co_ci_u32_e32 v10, vcc_lo, s17, v8, vcc_lo
	v_add_co_u32 v11, vcc_lo, s18, v7
	v_add3_u32 v16, v18, v16, v17
	v_add_co_ci_u32_e32 v12, vcc_lo, s19, v8, vcc_lo
	v_add3_u32 v17, v18, v14, v17
	v_add_co_u32 v14, vcc_lo, v15, -8
	s_delay_alu instid0(VALU_DEP_4) | instskip(SKIP_1) | instid1(VALU_DEP_4)
	v_add_co_ci_u32_e32 v15, vcc_lo, -1, v16, vcc_lo
	v_add_co_u32 v16, vcc_lo, v13, -8
	v_add_co_ci_u32_e32 v17, vcc_lo, -1, v17, vcc_lo
	s_delay_alu instid0(VALU_DEP_3) | instskip(NEXT) | instid1(VALU_DEP_2)
	v_cmp_ge_u64_e32 vcc_lo, v[9:10], v[14:15]
	v_cmp_ge_u64_e64 s0, v[11:12], v[16:17]
	s_delay_alu instid0(VALU_DEP_1) | instskip(NEXT) | instid1(SALU_CYCLE_1)
	s_or_b32 s0, vcc_lo, s0
	s_and_saveexec_b32 s1, s0
	s_delay_alu instid0(SALU_CYCLE_1)
	s_xor_b32 s25, exec_lo, s1
	s_cbranch_execz .LBB0_7
; %bb.5:
	global_load_b64 v[9:10], v[9:10], off
	global_load_b64 v[11:12], v[11:12], off
	s_add_u32 s0, s4, -2
	v_add_co_u32 v7, vcc_lo, v7, 8
	s_addc_u32 s1, s5, -1
	s_lshl_b64 s[28:29], s[4:5], 3
	v_add_co_ci_u32_e32 v8, vcc_lo, 0, v8, vcc_lo
	s_add_u32 s34, s26, s28
	s_addc_u32 s35, s27, s29
	s_add_u32 s34, s20, s34
	v_add_co_u32 v13, vcc_lo, s18, v7
	s_addc_u32 s35, s21, s35
	v_add_co_u32 v17, s34, s34, v19
	v_add_co_ci_u32_e32 v14, vcc_lo, s19, v8, vcc_lo
	v_add_co_ci_u32_e64 v18, null, s35, 0, s34
	v_add_co_u32 v15, vcc_lo, s16, v7
	v_add_co_ci_u32_e32 v16, vcc_lo, s17, v8, vcc_lo
	v_add_co_u32 v17, vcc_lo, v17, 8
	s_delay_alu instid0(VALU_DEP_4)
	v_add_co_ci_u32_e32 v18, vcc_lo, 0, v18, vcc_lo
.LBB0_6:                                ; =>This Inner Loop Header: Depth=1
	s_waitcnt vmcnt(1)
	v_fma_f64 v[7:8], v[9:10], s[6:7], s[8:9]
	s_add_u32 s0, s0, -1
	s_addc_u32 s1, s1, -1
	s_delay_alu instid0(SALU_CYCLE_1) | instskip(NEXT) | instid1(VALU_DEP_1)
	s_cmp_eq_u64 s[0:1], 0
	v_div_scale_f64 v[9:10], null, v[7:8], v[7:8], -s[10:11]
	v_div_scale_f64 v[23:24], vcc_lo, -s[10:11], v[7:8], -s[10:11]
	s_delay_alu instid0(VALU_DEP_2) | instskip(SKIP_2) | instid1(VALU_DEP_1)
	v_rcp_f64_e32 v[19:20], v[9:10]
	s_waitcnt_depctr 0xfff
	v_fma_f64 v[21:22], -v[9:10], v[19:20], 1.0
	v_fma_f64 v[19:20], v[19:20], v[21:22], v[19:20]
	s_delay_alu instid0(VALU_DEP_1) | instskip(NEXT) | instid1(VALU_DEP_1)
	v_fma_f64 v[21:22], -v[9:10], v[19:20], 1.0
	v_fma_f64 v[19:20], v[19:20], v[21:22], v[19:20]
	s_delay_alu instid0(VALU_DEP_1) | instskip(NEXT) | instid1(VALU_DEP_1)
	v_mul_f64 v[21:22], v[23:24], v[19:20]
	v_fma_f64 v[9:10], -v[9:10], v[21:22], v[23:24]
	s_delay_alu instid0(VALU_DEP_1) | instskip(NEXT) | instid1(VALU_DEP_1)
	v_div_fmas_f64 v[9:10], v[9:10], v[19:20], v[21:22]
	v_div_fixup_f64 v[9:10], v[9:10], v[7:8], -s[10:11]
	global_store_b64 v[15:16], v[9:10], off
	s_clause 0x1
	global_load_b128 v[19:22], v[17:18], off offset:-8
	global_load_b64 v[23:24], v[17:18], off offset:8
	s_waitcnt vmcnt(1)
	v_mul_f64 v[19:20], v[19:20], s[12:13]
	s_delay_alu instid0(VALU_DEP_1) | instskip(SKIP_1) | instid1(VALU_DEP_1)
	v_fma_f64 v[19:20], v[3:4], v[21:22], -v[19:20]
	s_waitcnt vmcnt(0)
	v_fma_f64 v[19:20], -v[23:24], s[14:15], v[19:20]
	s_delay_alu instid0(VALU_DEP_1) | instskip(NEXT) | instid1(VALU_DEP_1)
	v_fma_f64 v[11:12], -v[11:12], s[6:7], v[19:20]
	v_div_scale_f64 v[19:20], null, v[7:8], v[7:8], v[11:12]
	v_div_scale_f64 v[25:26], vcc_lo, v[11:12], v[7:8], v[11:12]
	s_delay_alu instid0(VALU_DEP_2) | instskip(SKIP_2) | instid1(VALU_DEP_1)
	v_rcp_f64_e32 v[21:22], v[19:20]
	s_waitcnt_depctr 0xfff
	v_fma_f64 v[23:24], -v[19:20], v[21:22], 1.0
	v_fma_f64 v[21:22], v[21:22], v[23:24], v[21:22]
	s_delay_alu instid0(VALU_DEP_1) | instskip(NEXT) | instid1(VALU_DEP_1)
	v_fma_f64 v[23:24], -v[19:20], v[21:22], 1.0
	v_fma_f64 v[21:22], v[21:22], v[23:24], v[21:22]
	s_delay_alu instid0(VALU_DEP_1) | instskip(NEXT) | instid1(VALU_DEP_1)
	v_mul_f64 v[23:24], v[25:26], v[21:22]
	v_fma_f64 v[19:20], -v[19:20], v[23:24], v[25:26]
	s_delay_alu instid0(VALU_DEP_1)
	v_div_fmas_f64 v[19:20], v[19:20], v[21:22], v[23:24]
	v_add_co_u32 v15, vcc_lo, v15, 8
	v_add_co_ci_u32_e32 v16, vcc_lo, 0, v16, vcc_lo
	v_add_co_u32 v17, vcc_lo, v17, s28
	v_add_co_ci_u32_e32 v18, vcc_lo, s29, v18, vcc_lo
	v_div_fixup_f64 v[11:12], v[19:20], v[7:8], v[11:12]
                                        ; implicit-def: $vgpr19
                                        ; implicit-def: $vgpr7_vgpr8
	global_store_b64 v[13:14], v[11:12], off
	v_add_co_u32 v13, vcc_lo, v13, 8
	v_add_co_ci_u32_e32 v14, vcc_lo, 0, v14, vcc_lo
	s_cbranch_scc0 .LBB0_6
.LBB0_7:
	s_or_saveexec_b32 s25, s25
	v_add_co_u32 v11, vcc_lo, v5, 8
	v_add_co_ci_u32_e32 v12, vcc_lo, 0, v6, vcc_lo
	s_xor_b32 exec_lo, exec_lo, s25
	s_cbranch_execz .LBB0_10
; %bb.8:
	s_lshl_b64 s[0:1], s[4:5], 3
	v_add_co_u32 v9, vcc_lo, v7, 8
	s_add_u32 s28, s26, s0
	s_addc_u32 s29, s27, s1
	s_add_u32 s20, s20, s28
	s_addc_u32 s21, s21, s29
	v_add_co_u32 v5, s20, s20, v19
	s_delay_alu instid0(VALU_DEP_1) | instskip(SKIP_1) | instid1(VALU_DEP_3)
	v_add_co_ci_u32_e64 v6, null, s21, 0, s20
	v_add_co_ci_u32_e32 v10, vcc_lo, 0, v8, vcc_lo
	v_add_co_u32 v5, vcc_lo, v5, 8
	s_delay_alu instid0(VALU_DEP_3) | instskip(SKIP_1) | instid1(VALU_DEP_4)
	v_add_co_ci_u32_e32 v6, vcc_lo, 0, v6, vcc_lo
	v_add_co_u32 v7, vcc_lo, s18, v9
	v_add_co_ci_u32_e32 v8, vcc_lo, s19, v10, vcc_lo
	v_add_co_u32 v9, vcc_lo, s16, v9
	v_add_co_ci_u32_e32 v10, vcc_lo, s17, v10, vcc_lo
	s_add_u32 s20, s4, -2
	s_addc_u32 s21, s5, -1
.LBB0_9:                                ; =>This Inner Loop Header: Depth=1
	global_load_b64 v[13:14], v[9:10], off offset:-8
	s_add_u32 s20, s20, -1
	s_addc_u32 s21, s21, -1
	s_delay_alu instid0(SALU_CYCLE_1) | instskip(SKIP_2) | instid1(VALU_DEP_1)
	s_cmp_eq_u64 s[20:21], 0
	s_waitcnt vmcnt(0)
	v_fma_f64 v[17:18], v[13:14], s[6:7], s[8:9]
	v_div_scale_f64 v[13:14], null, v[17:18], v[17:18], -s[10:11]
	v_div_scale_f64 v[21:22], vcc_lo, -s[10:11], v[17:18], -s[10:11]
	s_delay_alu instid0(VALU_DEP_2) | instskip(SKIP_2) | instid1(VALU_DEP_1)
	v_rcp_f64_e32 v[15:16], v[13:14]
	s_waitcnt_depctr 0xfff
	v_fma_f64 v[19:20], -v[13:14], v[15:16], 1.0
	v_fma_f64 v[15:16], v[15:16], v[19:20], v[15:16]
	s_delay_alu instid0(VALU_DEP_1) | instskip(NEXT) | instid1(VALU_DEP_1)
	v_fma_f64 v[19:20], -v[13:14], v[15:16], 1.0
	v_fma_f64 v[15:16], v[15:16], v[19:20], v[15:16]
	s_delay_alu instid0(VALU_DEP_1) | instskip(NEXT) | instid1(VALU_DEP_1)
	v_mul_f64 v[19:20], v[21:22], v[15:16]
	v_fma_f64 v[13:14], -v[13:14], v[19:20], v[21:22]
	s_delay_alu instid0(VALU_DEP_1) | instskip(NEXT) | instid1(VALU_DEP_1)
	v_div_fmas_f64 v[13:14], v[13:14], v[15:16], v[19:20]
	v_div_fixup_f64 v[13:14], v[13:14], v[17:18], -s[10:11]
	global_store_b64 v[9:10], v[13:14], off
	s_clause 0x1
	global_load_b128 v[13:16], v[5:6], off offset:-8
	global_load_b64 v[19:20], v[5:6], off offset:8
	global_load_b64 v[21:22], v[7:8], off offset:-8
	s_waitcnt vmcnt(2)
	v_mul_f64 v[13:14], v[13:14], s[12:13]
	s_delay_alu instid0(VALU_DEP_1) | instskip(SKIP_1) | instid1(VALU_DEP_1)
	v_fma_f64 v[13:14], v[3:4], v[15:16], -v[13:14]
	s_waitcnt vmcnt(1)
	v_fma_f64 v[13:14], -v[19:20], s[14:15], v[13:14]
	s_waitcnt vmcnt(0)
	s_delay_alu instid0(VALU_DEP_1) | instskip(NEXT) | instid1(VALU_DEP_1)
	v_fma_f64 v[13:14], -v[21:22], s[6:7], v[13:14]
	v_div_scale_f64 v[15:16], null, v[17:18], v[17:18], v[13:14]
	v_div_scale_f64 v[23:24], vcc_lo, v[13:14], v[17:18], v[13:14]
	s_delay_alu instid0(VALU_DEP_2) | instskip(SKIP_2) | instid1(VALU_DEP_1)
	v_rcp_f64_e32 v[19:20], v[15:16]
	s_waitcnt_depctr 0xfff
	v_fma_f64 v[21:22], -v[15:16], v[19:20], 1.0
	v_fma_f64 v[19:20], v[19:20], v[21:22], v[19:20]
	s_delay_alu instid0(VALU_DEP_1) | instskip(NEXT) | instid1(VALU_DEP_1)
	v_fma_f64 v[21:22], -v[15:16], v[19:20], 1.0
	v_fma_f64 v[19:20], v[19:20], v[21:22], v[19:20]
	s_delay_alu instid0(VALU_DEP_1) | instskip(NEXT) | instid1(VALU_DEP_1)
	v_mul_f64 v[21:22], v[23:24], v[19:20]
	v_fma_f64 v[15:16], -v[15:16], v[21:22], v[23:24]
	s_delay_alu instid0(VALU_DEP_1)
	v_div_fmas_f64 v[15:16], v[15:16], v[19:20], v[21:22]
	v_add_co_u32 v9, vcc_lo, v9, 8
	v_add_co_ci_u32_e32 v10, vcc_lo, 0, v10, vcc_lo
	v_add_co_u32 v5, vcc_lo, v5, s0
	v_add_co_ci_u32_e32 v6, vcc_lo, s1, v6, vcc_lo
	v_div_fixup_f64 v[13:14], v[15:16], v[17:18], v[13:14]
	global_store_b64 v[7:8], v[13:14], off
	v_add_co_u32 v7, vcc_lo, v7, 8
	v_add_co_ci_u32_e32 v8, vcc_lo, 0, v8, vcc_lo
	s_cbranch_scc0 .LBB0_9
.LBB0_10:
	s_or_b32 exec_lo, exec_lo, s25
	v_dual_mov_b32 v7, 0 :: v_dual_lshlrev_b32 v0, 3, v0
	s_add_i32 s0, s33, s30
	v_mov_b32_e32 v8, 0x3ff00000
	s_add_i32 s25, s0, s31
	s_delay_alu instid0(VALU_DEP_2) | instskip(NEXT) | instid1(VALU_DEP_1)
	v_add_co_u32 v0, s1, s26, v0
	v_add_co_ci_u32_e64 v3, null, s27, 0, s1
	s_lshl_b64 s[0:1], s[24:25], 3
	s_delay_alu instid0(VALU_DEP_2) | instskip(NEXT) | instid1(VALU_DEP_2)
	v_add_co_u32 v0, vcc_lo, v0, 16
	v_add_co_ci_u32_e32 v3, vcc_lo, 0, v3, vcc_lo
	s_add_u32 s6, s22, s0
	s_delay_alu instid0(VALU_DEP_2) | instskip(SKIP_1) | instid1(VALU_DEP_2)
	v_mul_lo_u32 v10, s5, v0
	s_addc_u32 s7, s23, s1
	v_mul_lo_u32 v9, s4, v3
	v_mad_u64_u32 v[3:4], null, s4, v0, -16
	v_add_co_u32 v5, vcc_lo, s6, v1
	s_add_u32 s6, s4, -2
	v_add_co_ci_u32_e32 v6, vcc_lo, s7, v2, vcc_lo
	s_addc_u32 s7, s5, -1
	s_delay_alu instid0(VALU_DEP_3) | instskip(SKIP_3) | instid1(VALU_DEP_2)
	v_add3_u32 v4, v10, v4, v9
	s_mul_i32 s7, s4, s7
	s_mul_hi_u32 s8, s4, s6
	v_add_co_u32 v0, vcc_lo, s18, v3
	v_add_co_ci_u32_e32 v1, vcc_lo, s19, v4, vcc_lo
	s_add_i32 s7, s8, s7
	s_mul_i32 s8, s5, s6
	v_add_co_u32 v2, vcc_lo, s16, v3
	s_add_i32 s7, s7, s8
	s_mul_i32 s6, s4, s6
	v_add_co_ci_u32_e32 v3, vcc_lo, s17, v4, vcc_lo
	s_lshl_b64 s[8:9], s[4:5], 3
	s_lshl_b64 s[4:5], s[6:7], 3
	s_sub_u32 s6, 0, s8
	s_subb_u32 s7, 0, s9
	global_store_b64 v[5:6], v[7:8], off offset:8
	.p2align	6
.LBB0_11:                               ; =>This Inner Loop Header: Depth=1
	v_add_co_u32 v4, vcc_lo, v11, s0
	v_add_co_ci_u32_e32 v5, vcc_lo, s1, v12, vcc_lo
	s_add_u32 s2, s2, -1
	global_load_b64 v[6:7], v[2:3], off
	global_load_b64 v[8:9], v[0:1], off
	;; [unrolled: 1-line block ×3, first 2 shown]
	s_addc_u32 s3, s3, -1
	s_delay_alu instid0(SALU_CYCLE_1)
	v_cmp_lt_u64_e64 s8, s[2:3], 2
	s_waitcnt vmcnt(0)
	v_fma_f64 v[4:5], v[6:7], v[4:5], v[8:9]
	v_add_co_u32 v6, vcc_lo, v11, s4
	v_add_co_ci_u32_e32 v7, vcc_lo, s5, v12, vcc_lo
	v_add_co_u32 v0, vcc_lo, v0, -8
	v_add_co_ci_u32_e32 v1, vcc_lo, -1, v1, vcc_lo
	v_add_co_u32 v2, vcc_lo, v2, -8
	v_add_co_ci_u32_e32 v3, vcc_lo, -1, v3, vcc_lo
	v_add_co_u32 v11, vcc_lo, v11, s6
	v_add_co_ci_u32_e32 v12, vcc_lo, s7, v12, vcc_lo
	s_and_b32 vcc_lo, exec_lo, s8
	global_store_b64 v[6:7], v[4:5], off
	s_cbranch_vccz .LBB0_11
.LBB0_12:
	s_nop 0
	s_sendmsg sendmsg(MSG_DEALLOC_VGPRS)
	s_endpgm
	.section	.rodata,"a",@progbits
	.p2align	6, 0x0
	.amdhsa_kernel _ZN8rajaperf9polybench9poly_adi1ILm256EEEvldddddPdS2_S2_S2_
		.amdhsa_group_segment_fixed_size 0
		.amdhsa_private_segment_fixed_size 0
		.amdhsa_kernarg_size 80
		.amdhsa_user_sgpr_count 15
		.amdhsa_user_sgpr_dispatch_ptr 0
		.amdhsa_user_sgpr_queue_ptr 0
		.amdhsa_user_sgpr_kernarg_segment_ptr 1
		.amdhsa_user_sgpr_dispatch_id 0
		.amdhsa_user_sgpr_private_segment_size 0
		.amdhsa_wavefront_size32 1
		.amdhsa_uses_dynamic_stack 0
		.amdhsa_enable_private_segment 0
		.amdhsa_system_sgpr_workgroup_id_x 1
		.amdhsa_system_sgpr_workgroup_id_y 0
		.amdhsa_system_sgpr_workgroup_id_z 0
		.amdhsa_system_sgpr_workgroup_info 0
		.amdhsa_system_vgpr_workitem_id 0
		.amdhsa_next_free_vgpr 27
		.amdhsa_next_free_sgpr 36
		.amdhsa_reserve_vcc 1
		.amdhsa_float_round_mode_32 0
		.amdhsa_float_round_mode_16_64 0
		.amdhsa_float_denorm_mode_32 3
		.amdhsa_float_denorm_mode_16_64 3
		.amdhsa_dx10_clamp 1
		.amdhsa_ieee_mode 1
		.amdhsa_fp16_overflow 0
		.amdhsa_workgroup_processor_mode 1
		.amdhsa_memory_ordered 1
		.amdhsa_forward_progress 0
		.amdhsa_shared_vgpr_count 0
		.amdhsa_exception_fp_ieee_invalid_op 0
		.amdhsa_exception_fp_denorm_src 0
		.amdhsa_exception_fp_ieee_div_zero 0
		.amdhsa_exception_fp_ieee_overflow 0
		.amdhsa_exception_fp_ieee_underflow 0
		.amdhsa_exception_fp_ieee_inexact 0
		.amdhsa_exception_int_div_zero 0
	.end_amdhsa_kernel
	.section	.text._ZN8rajaperf9polybench9poly_adi1ILm256EEEvldddddPdS2_S2_S2_,"axG",@progbits,_ZN8rajaperf9polybench9poly_adi1ILm256EEEvldddddPdS2_S2_S2_,comdat
.Lfunc_end0:
	.size	_ZN8rajaperf9polybench9poly_adi1ILm256EEEvldddddPdS2_S2_S2_, .Lfunc_end0-_ZN8rajaperf9polybench9poly_adi1ILm256EEEvldddddPdS2_S2_S2_
                                        ; -- End function
	.section	.AMDGPU.csdata,"",@progbits
; Kernel info:
; codeLenInByte = 1864
; NumSgprs: 38
; NumVgprs: 27
; ScratchSize: 0
; MemoryBound: 0
; FloatMode: 240
; IeeeMode: 1
; LDSByteSize: 0 bytes/workgroup (compile time only)
; SGPRBlocks: 4
; VGPRBlocks: 3
; NumSGPRsForWavesPerEU: 38
; NumVGPRsForWavesPerEU: 27
; Occupancy: 16
; WaveLimiterHint : 0
; COMPUTE_PGM_RSRC2:SCRATCH_EN: 0
; COMPUTE_PGM_RSRC2:USER_SGPR: 15
; COMPUTE_PGM_RSRC2:TRAP_HANDLER: 0
; COMPUTE_PGM_RSRC2:TGID_X_EN: 1
; COMPUTE_PGM_RSRC2:TGID_Y_EN: 0
; COMPUTE_PGM_RSRC2:TGID_Z_EN: 0
; COMPUTE_PGM_RSRC2:TIDIG_COMP_CNT: 0
	.section	.text._ZN8rajaperf9polybench9poly_adi2ILm256EEEvldddddPdS2_S2_S2_,"axG",@progbits,_ZN8rajaperf9polybench9poly_adi2ILm256EEEvldddddPdS2_S2_S2_,comdat
	.protected	_ZN8rajaperf9polybench9poly_adi2ILm256EEEvldddddPdS2_S2_S2_ ; -- Begin function _ZN8rajaperf9polybench9poly_adi2ILm256EEEvldddddPdS2_S2_S2_
	.globl	_ZN8rajaperf9polybench9poly_adi2ILm256EEEvldddddPdS2_S2_S2_
	.p2align	8
	.type	_ZN8rajaperf9polybench9poly_adi2ILm256EEEvldddddPdS2_S2_S2_,@function
_ZN8rajaperf9polybench9poly_adi2ILm256EEEvldddddPdS2_S2_S2_: ; @_ZN8rajaperf9polybench9poly_adi2ILm256EEEvldddddPdS2_S2_S2_
; %bb.0:
	s_mov_b32 s24, s15
	s_load_b512 s[4:19], s[0:1], 0x0
	v_add_nc_u32_e32 v1, 1, v0
	s_mov_b32 s25, 0
	s_mov_b32 s20, exec_lo
	s_lshl_b64 s[26:27], s[24:25], 8
	s_delay_alu instid0(VALU_DEP_1) | instid1(SALU_CYCLE_1)
	v_add_co_u32 v1, s2, s26, v1
	s_delay_alu instid0(VALU_DEP_1)
	v_add_co_ci_u32_e64 v2, null, s27, 0, s2
	s_waitcnt lgkmcnt(0)
	s_add_u32 s2, s4, -1
	s_addc_u32 s3, s5, -1
	s_delay_alu instid0(VALU_DEP_1) | instid1(SALU_CYCLE_1)
	v_cmpx_gt_i64_e64 s[2:3], v[1:2]
	s_cbranch_execz .LBB1_16
; %bb.1:
	s_load_b128 s[20:23], s[0:1], 0x40
	v_mul_lo_u32 v2, v2, s4
	v_mul_lo_u32 v5, v1, s5
	v_mad_u64_u32 v[3:4], null, v1, s4, 0
	v_cmp_lt_i64_e64 s1, s[4:5], 3
	s_mov_b32 s0, -1
	v_mov_b32_e32 v6, 0x3ff00000
	s_delay_alu instid0(VALU_DEP_3) | instskip(SKIP_1) | instid1(VALU_DEP_2)
	v_add3_u32 v4, v4, v5, v2
	v_mov_b32_e32 v5, 0
	v_lshlrev_b64 v[7:8], 3, v[3:4]
	s_delay_alu instid0(VALU_DEP_2) | instskip(SKIP_2) | instid1(VALU_DEP_3)
	v_mov_b32_e32 v9, v5
	v_mov_b32_e32 v10, v5
	s_waitcnt lgkmcnt(0)
	v_add_co_u32 v1, vcc_lo, s20, v7
	s_delay_alu instid0(VALU_DEP_4)
	v_add_co_ci_u32_e32 v2, vcc_lo, s21, v8, vcc_lo
	v_add_co_u32 v11, vcc_lo, s16, v7
	v_add_co_ci_u32_e32 v12, vcc_lo, s17, v8, vcc_lo
	global_store_b64 v[1:2], v[5:6], off
	global_store_b64 v[11:12], v[9:10], off
	global_load_b64 v[9:10], v[1:2], off
	v_add_co_u32 v11, vcc_lo, s18, v7
	v_add_co_ci_u32_e32 v12, vcc_lo, s19, v8, vcc_lo
	s_and_b32 vcc_lo, exec_lo, s1
	s_waitcnt vmcnt(0)
	global_store_b64 v[11:12], v[9:10], off
	s_cbranch_vccz .LBB1_3
; %bb.2:
	s_lshl_b64 s[0:1], s[4:5], 3
	s_delay_alu instid0(SALU_CYCLE_1)
	v_add_co_u32 v9, vcc_lo, v1, s0
	v_add_co_ci_u32_e32 v10, vcc_lo, s1, v2, vcc_lo
	s_mov_b32 s0, 0
	global_store_b64 v[9:10], v[5:6], off offset:-8
.LBB1_3:
	s_and_not1_b32 vcc_lo, exec_lo, s0
	s_cbranch_vccnz .LBB1_16
; %bb.4:
	s_lshl_b64 s[24:25], s[24:25], 11
	s_delay_alu instid0(SALU_CYCLE_1) | instskip(NEXT) | instid1(VALU_DEP_1)
	v_lshl_or_b32 v5, v0, 3, s24
	v_add_co_u32 v5, s0, v5, 16
	s_delay_alu instid0(VALU_DEP_1) | instskip(NEXT) | instid1(VALU_DEP_2)
	v_add_co_ci_u32_e64 v6, null, s25, 0, s0
	v_mul_lo_u32 v12, v5, s5
	v_mad_u64_u32 v[9:10], null, v5, s4, 0
	s_delay_alu instid0(VALU_DEP_3) | instskip(SKIP_1) | instid1(VALU_DEP_2)
	v_mul_lo_u32 v11, v6, s4
	v_fma_f64 v[5:6], s[6:7], 2.0, 1.0
	v_add3_u32 v10, v10, v12, v11
	v_add_co_u32 v11, vcc_lo, s16, v7
	v_add_co_ci_u32_e32 v12, vcc_lo, s17, v8, vcc_lo
	v_add_co_u32 v13, vcc_lo, s16, v9
	s_delay_alu instid0(VALU_DEP_4) | instskip(SKIP_2) | instid1(VALU_DEP_4)
	v_add_co_ci_u32_e32 v14, vcc_lo, s17, v10, vcc_lo
	v_add_co_u32 v17, vcc_lo, s18, v9
	v_add_co_ci_u32_e32 v18, vcc_lo, s19, v10, vcc_lo
	v_add_co_u32 v15, vcc_lo, v13, -8
	s_delay_alu instid0(VALU_DEP_4) | instskip(NEXT) | instid1(VALU_DEP_4)
	v_add_co_ci_u32_e32 v16, vcc_lo, -1, v14, vcc_lo
	v_add_co_u32 v17, vcc_lo, v17, -8
	s_delay_alu instid0(VALU_DEP_4) | instskip(SKIP_2) | instid1(VALU_DEP_3)
	v_add_co_ci_u32_e32 v18, vcc_lo, -1, v18, vcc_lo
	v_add_co_u32 v13, vcc_lo, s18, v7
	v_add_co_ci_u32_e32 v14, vcc_lo, s19, v8, vcc_lo
	v_cmp_ge_u64_e32 vcc_lo, v[11:12], v[17:18]
	s_delay_alu instid0(VALU_DEP_2) | instskip(NEXT) | instid1(VALU_DEP_1)
	v_cmp_ge_u64_e64 s0, v[13:14], v[15:16]
	s_or_b32 s0, vcc_lo, s0
	s_delay_alu instid0(SALU_CYCLE_1) | instskip(NEXT) | instid1(SALU_CYCLE_1)
	s_and_saveexec_b32 s1, s0
	s_xor_b32 s28, exec_lo, s1
	s_cbranch_execz .LBB1_7
; %bb.5:
	global_load_b64 v[11:12], v[11:12], off
	global_load_b64 v[13:14], v[13:14], off
	v_add_co_u32 v15, s0, s26, v0
	s_delay_alu instid0(VALU_DEP_1) | instskip(SKIP_2) | instid1(VALU_DEP_4)
	v_add_co_ci_u32_e64 v16, null, s27, 0, s0
	v_add_co_u32 v19, vcc_lo, v7, 8
	v_add_co_ci_u32_e32 v20, vcc_lo, 0, v8, vcc_lo
	v_mul_lo_u32 v21, s5, v15
	s_delay_alu instid0(VALU_DEP_4) | instskip(SKIP_4) | instid1(VALU_DEP_4)
	v_mul_lo_u32 v22, s4, v16
	v_mad_u64_u32 v[7:8], null, s4, v15, 0
	v_add_co_u32 v15, vcc_lo, s18, v19
	v_add_co_ci_u32_e32 v16, vcc_lo, s19, v20, vcc_lo
	v_add_co_u32 v17, vcc_lo, s16, v19
	v_add3_u32 v8, v8, v22, v21
	v_add_co_ci_u32_e32 v18, vcc_lo, s17, v20, vcc_lo
	v_add_co_u32 v19, vcc_lo, s22, v19
	s_delay_alu instid0(VALU_DEP_3) | instskip(SKIP_3) | instid1(VALU_DEP_4)
	v_lshlrev_b64 v[7:8], 3, v[7:8]
	v_add_co_ci_u32_e32 v20, vcc_lo, s23, v20, vcc_lo
	v_add_co_u32 v9, vcc_lo, v9, s22
	v_add_co_ci_u32_e32 v10, vcc_lo, s23, v10, vcc_lo
	v_add_co_u32 v7, vcc_lo, v7, s22
	v_add_co_ci_u32_e32 v8, vcc_lo, s23, v8, vcc_lo
	s_delay_alu instid0(VALU_DEP_4) | instskip(NEXT) | instid1(VALU_DEP_4)
	v_add_co_u32 v21, vcc_lo, v9, 8
	v_add_co_ci_u32_e32 v22, vcc_lo, 0, v10, vcc_lo
	s_delay_alu instid0(VALU_DEP_4) | instskip(NEXT) | instid1(VALU_DEP_4)
	v_add_co_u32 v23, vcc_lo, v7, 8
	v_add_co_ci_u32_e32 v24, vcc_lo, 0, v8, vcc_lo
	s_add_u32 s0, s4, -2
	s_addc_u32 s1, s5, -1
.LBB1_6:                                ; =>This Inner Loop Header: Depth=1
	s_waitcnt vmcnt(1)
	v_fma_f64 v[7:8], v[11:12], s[10:11], s[12:13]
	s_add_u32 s0, s0, -1
	s_addc_u32 s1, s1, -1
	s_delay_alu instid0(SALU_CYCLE_1) | instskip(NEXT) | instid1(VALU_DEP_1)
	s_cmp_eq_u64 s[0:1], 0
	v_div_scale_f64 v[9:10], null, v[7:8], v[7:8], -s[14:15]
	v_div_scale_f64 v[27:28], vcc_lo, -s[14:15], v[7:8], -s[14:15]
	s_delay_alu instid0(VALU_DEP_2) | instskip(SKIP_2) | instid1(VALU_DEP_1)
	v_rcp_f64_e32 v[11:12], v[9:10]
	s_waitcnt_depctr 0xfff
	v_fma_f64 v[25:26], -v[9:10], v[11:12], 1.0
	v_fma_f64 v[11:12], v[11:12], v[25:26], v[11:12]
	s_delay_alu instid0(VALU_DEP_1) | instskip(NEXT) | instid1(VALU_DEP_1)
	v_fma_f64 v[25:26], -v[9:10], v[11:12], 1.0
	v_fma_f64 v[11:12], v[11:12], v[25:26], v[11:12]
	s_delay_alu instid0(VALU_DEP_1) | instskip(NEXT) | instid1(VALU_DEP_1)
	v_mul_f64 v[25:26], v[27:28], v[11:12]
	v_fma_f64 v[9:10], -v[9:10], v[25:26], v[27:28]
	s_delay_alu instid0(VALU_DEP_1) | instskip(NEXT) | instid1(VALU_DEP_1)
	v_div_fmas_f64 v[9:10], v[9:10], v[11:12], v[25:26]
	v_div_fixup_f64 v[11:12], v[9:10], v[7:8], -s[14:15]
	global_store_b64 v[17:18], v[11:12], off
	global_load_b64 v[9:10], v[23:24], off
	global_load_b64 v[25:26], v[19:20], off
	;; [unrolled: 1-line block ×3, first 2 shown]
	s_waitcnt vmcnt(2)
	v_mul_f64 v[9:10], v[9:10], s[6:7]
	s_waitcnt vmcnt(1)
	s_delay_alu instid0(VALU_DEP_1) | instskip(SKIP_1) | instid1(VALU_DEP_1)
	v_fma_f64 v[9:10], v[5:6], v[25:26], -v[9:10]
	s_waitcnt vmcnt(0)
	v_fma_f64 v[9:10], -v[27:28], s[8:9], v[9:10]
	s_delay_alu instid0(VALU_DEP_1) | instskip(NEXT) | instid1(VALU_DEP_1)
	v_fma_f64 v[9:10], -v[13:14], s[10:11], v[9:10]
	v_div_scale_f64 v[13:14], null, v[7:8], v[7:8], v[9:10]
	v_div_scale_f64 v[29:30], vcc_lo, v[9:10], v[7:8], v[9:10]
	s_delay_alu instid0(VALU_DEP_2) | instskip(SKIP_2) | instid1(VALU_DEP_1)
	v_rcp_f64_e32 v[25:26], v[13:14]
	s_waitcnt_depctr 0xfff
	v_fma_f64 v[27:28], -v[13:14], v[25:26], 1.0
	v_fma_f64 v[25:26], v[25:26], v[27:28], v[25:26]
	s_delay_alu instid0(VALU_DEP_1) | instskip(NEXT) | instid1(VALU_DEP_1)
	v_fma_f64 v[27:28], -v[13:14], v[25:26], 1.0
	v_fma_f64 v[25:26], v[25:26], v[27:28], v[25:26]
	s_delay_alu instid0(VALU_DEP_1) | instskip(NEXT) | instid1(VALU_DEP_1)
	v_mul_f64 v[27:28], v[29:30], v[25:26]
	v_fma_f64 v[13:14], -v[13:14], v[27:28], v[29:30]
	s_delay_alu instid0(VALU_DEP_1)
	v_div_fmas_f64 v[13:14], v[13:14], v[25:26], v[27:28]
	v_add_co_u32 v17, vcc_lo, v17, 8
	v_add_co_ci_u32_e32 v18, vcc_lo, 0, v18, vcc_lo
	v_add_co_u32 v19, vcc_lo, v19, 8
	v_add_co_ci_u32_e32 v20, vcc_lo, 0, v20, vcc_lo
	;; [unrolled: 2-line block ×4, first 2 shown]
	v_div_fixup_f64 v[13:14], v[13:14], v[7:8], v[9:10]
                                        ; implicit-def: $vgpr7_vgpr8
                                        ; implicit-def: $vgpr9_vgpr10
	global_store_b64 v[15:16], v[13:14], off
	v_add_co_u32 v15, vcc_lo, v15, 8
	v_add_co_ci_u32_e32 v16, vcc_lo, 0, v16, vcc_lo
	s_cbranch_scc0 .LBB1_6
.LBB1_7:
	s_and_not1_saveexec_b32 s28, s28
	s_cbranch_execz .LBB1_10
; %bb.8:
	v_add_co_u32 v13, s0, s26, v0
	s_delay_alu instid0(VALU_DEP_1) | instskip(SKIP_1) | instid1(VALU_DEP_2)
	v_add_co_ci_u32_e64 v11, null, s27, 0, s0
	s_add_u32 s0, s4, -2
	v_mul_lo_u32 v14, s5, v13
	s_addc_u32 s1, s5, -1
	s_delay_alu instid0(VALU_DEP_2) | instskip(SKIP_1) | instid1(VALU_DEP_1)
	v_mul_lo_u32 v15, s4, v11
	v_mad_u64_u32 v[11:12], null, s4, v13, 0
	v_add3_u32 v12, v12, v15, v14
	v_add_co_u32 v15, vcc_lo, v7, 8
	v_add_co_ci_u32_e32 v16, vcc_lo, 0, v8, vcc_lo
	s_delay_alu instid0(VALU_DEP_3) | instskip(NEXT) | instid1(VALU_DEP_3)
	v_lshlrev_b64 v[11:12], 3, v[11:12]
	v_add_co_u32 v7, vcc_lo, s22, v15
	s_delay_alu instid0(VALU_DEP_3) | instskip(NEXT) | instid1(VALU_DEP_3)
	v_add_co_ci_u32_e32 v8, vcc_lo, s23, v16, vcc_lo
	v_add_co_u32 v13, vcc_lo, v11, s22
	s_delay_alu instid0(VALU_DEP_4) | instskip(SKIP_2) | instid1(VALU_DEP_4)
	v_add_co_ci_u32_e32 v14, vcc_lo, s23, v12, vcc_lo
	v_add_co_u32 v11, vcc_lo, s18, v15
	v_add_co_ci_u32_e32 v12, vcc_lo, s19, v16, vcc_lo
	v_add_co_u32 v13, vcc_lo, v13, 8
	s_delay_alu instid0(VALU_DEP_4) | instskip(SKIP_4) | instid1(VALU_DEP_4)
	v_add_co_ci_u32_e32 v14, vcc_lo, 0, v14, vcc_lo
	v_add_co_u32 v17, vcc_lo, v9, s22
	v_add_co_ci_u32_e32 v18, vcc_lo, s23, v10, vcc_lo
	v_add_co_u32 v9, vcc_lo, s16, v15
	;; [unrolled: 2-line block ×3, first 2 shown]
	s_delay_alu instid0(VALU_DEP_4)
	v_add_co_ci_u32_e32 v16, vcc_lo, 0, v18, vcc_lo
.LBB1_9:                                ; =>This Inner Loop Header: Depth=1
	global_load_b64 v[17:18], v[9:10], off offset:-8
	s_add_u32 s0, s0, -1
	s_addc_u32 s1, s1, -1
	s_delay_alu instid0(SALU_CYCLE_1) | instskip(SKIP_2) | instid1(VALU_DEP_1)
	s_cmp_eq_u64 s[0:1], 0
	s_waitcnt vmcnt(0)
	v_fma_f64 v[17:18], v[17:18], s[10:11], s[12:13]
	v_div_scale_f64 v[19:20], null, v[17:18], v[17:18], -s[14:15]
	v_div_scale_f64 v[25:26], vcc_lo, -s[14:15], v[17:18], -s[14:15]
	s_delay_alu instid0(VALU_DEP_2) | instskip(SKIP_2) | instid1(VALU_DEP_1)
	v_rcp_f64_e32 v[21:22], v[19:20]
	s_waitcnt_depctr 0xfff
	v_fma_f64 v[23:24], -v[19:20], v[21:22], 1.0
	v_fma_f64 v[21:22], v[21:22], v[23:24], v[21:22]
	s_delay_alu instid0(VALU_DEP_1) | instskip(NEXT) | instid1(VALU_DEP_1)
	v_fma_f64 v[23:24], -v[19:20], v[21:22], 1.0
	v_fma_f64 v[21:22], v[21:22], v[23:24], v[21:22]
	s_delay_alu instid0(VALU_DEP_1) | instskip(NEXT) | instid1(VALU_DEP_1)
	v_mul_f64 v[23:24], v[25:26], v[21:22]
	v_fma_f64 v[19:20], -v[19:20], v[23:24], v[25:26]
	s_delay_alu instid0(VALU_DEP_1) | instskip(NEXT) | instid1(VALU_DEP_1)
	v_div_fmas_f64 v[19:20], v[19:20], v[21:22], v[23:24]
	v_div_fixup_f64 v[19:20], v[19:20], v[17:18], -s[14:15]
	global_store_b64 v[9:10], v[19:20], off
	global_load_b64 v[19:20], v[13:14], off
	global_load_b64 v[21:22], v[7:8], off
	;; [unrolled: 1-line block ×3, first 2 shown]
	global_load_b64 v[25:26], v[11:12], off offset:-8
	s_waitcnt vmcnt(3)
	v_mul_f64 v[19:20], v[19:20], s[6:7]
	s_waitcnt vmcnt(2)
	s_delay_alu instid0(VALU_DEP_1) | instskip(SKIP_1) | instid1(VALU_DEP_1)
	v_fma_f64 v[19:20], v[5:6], v[21:22], -v[19:20]
	s_waitcnt vmcnt(1)
	v_fma_f64 v[19:20], -v[23:24], s[8:9], v[19:20]
	s_waitcnt vmcnt(0)
	s_delay_alu instid0(VALU_DEP_1) | instskip(NEXT) | instid1(VALU_DEP_1)
	v_fma_f64 v[19:20], -v[25:26], s[10:11], v[19:20]
	v_div_scale_f64 v[21:22], null, v[17:18], v[17:18], v[19:20]
	v_div_scale_f64 v[27:28], vcc_lo, v[19:20], v[17:18], v[19:20]
	s_delay_alu instid0(VALU_DEP_2) | instskip(SKIP_2) | instid1(VALU_DEP_1)
	v_rcp_f64_e32 v[23:24], v[21:22]
	s_waitcnt_depctr 0xfff
	v_fma_f64 v[25:26], -v[21:22], v[23:24], 1.0
	v_fma_f64 v[23:24], v[23:24], v[25:26], v[23:24]
	s_delay_alu instid0(VALU_DEP_1) | instskip(NEXT) | instid1(VALU_DEP_1)
	v_fma_f64 v[25:26], -v[21:22], v[23:24], 1.0
	v_fma_f64 v[23:24], v[23:24], v[25:26], v[23:24]
	s_delay_alu instid0(VALU_DEP_1) | instskip(NEXT) | instid1(VALU_DEP_1)
	v_mul_f64 v[25:26], v[27:28], v[23:24]
	v_fma_f64 v[21:22], -v[21:22], v[25:26], v[27:28]
	s_delay_alu instid0(VALU_DEP_1)
	v_div_fmas_f64 v[21:22], v[21:22], v[23:24], v[25:26]
	v_add_co_u32 v9, vcc_lo, v9, 8
	v_add_co_ci_u32_e32 v10, vcc_lo, 0, v10, vcc_lo
	v_add_co_u32 v7, vcc_lo, v7, 8
	v_add_co_ci_u32_e32 v8, vcc_lo, 0, v8, vcc_lo
	;; [unrolled: 2-line block ×4, first 2 shown]
	v_div_fixup_f64 v[17:18], v[21:22], v[17:18], v[19:20]
	global_store_b64 v[11:12], v[17:18], off
	v_add_co_u32 v11, vcc_lo, v11, 8
	v_add_co_ci_u32_e32 v12, vcc_lo, 0, v12, vcc_lo
	s_cbranch_scc0 .LBB1_9
.LBB1_10:
	s_or_b32 exec_lo, exec_lo, s28
	v_add_co_u32 v3, vcc_lo, v3, s4
	v_add_co_ci_u32_e32 v4, vcc_lo, s5, v4, vcc_lo
	s_lshl_b64 s[6:7], s[4:5], 3
	s_add_u32 s8, s4, -3
	s_addc_u32 s9, s5, -1
	s_delay_alu instid0(VALU_DEP_1) | instskip(SKIP_3) | instid1(VALU_DEP_1)
	v_lshlrev_b64 v[3:4], 3, v[3:4]
	s_lshl_b64 s[0:1], s[8:9], 3
	s_mov_b32 s10, 0
	s_brev_b32 s11, 4
	v_add_co_u32 v7, vcc_lo, s20, v3
	s_delay_alu instid0(VALU_DEP_2) | instskip(NEXT) | instid1(VALU_DEP_2)
	v_add_co_ci_u32_e32 v8, vcc_lo, s21, v4, vcc_lo
	v_sub_co_u32 v9, vcc_lo, v7, s0
	s_delay_alu instid0(VALU_DEP_2) | instskip(SKIP_2) | instid1(VALU_DEP_4)
	v_subrev_co_ci_u32_e32 v10, vcc_lo, s1, v8, vcc_lo
	v_add_co_u32 v3, vcc_lo, v7, -8
	v_add_co_ci_u32_e32 v4, vcc_lo, -1, v8, vcc_lo
	v_add_co_u32 v5, vcc_lo, v9, -8
	s_delay_alu instid0(VALU_DEP_4)
	v_add_co_ci_u32_e32 v6, vcc_lo, -1, v10, vcc_lo
	v_add_co_u32 v7, vcc_lo, v7, -16
	v_add_co_ci_u32_e32 v8, vcc_lo, -1, v8, vcc_lo
	v_add_co_u32 v9, vcc_lo, v9, -16
	v_add_co_ci_u32_e32 v10, vcc_lo, -1, v10, vcc_lo
	v_add_co_u32 v1, s1, v1, s6
	v_cmp_le_u64_e32 vcc_lo, v[5:6], v[3:4]
	s_delay_alu instid0(VALU_DEP_3)
	v_cmp_le_u64_e64 s0, v[9:10], v[7:8]
	v_add_co_ci_u32_e64 v2, s1, s7, v2, s1
	v_cmp_lt_u64_e64 s1, s[8:9], s[10:11]
	v_dual_mov_b32 v5, 0 :: v_dual_mov_b32 v6, 0x3ff00000
	v_lshlrev_b32_e32 v8, 3, v0
	s_and_b32 s0, s0, vcc_lo
	s_delay_alu instid0(VALU_DEP_3) | instid1(SALU_CYCLE_1)
	s_and_b32 s0, s0, s1
	global_store_b64 v[1:2], v[5:6], off offset:-8
	s_and_saveexec_b32 s1, s0
	s_delay_alu instid0(SALU_CYCLE_1)
	s_xor_b32 s1, exec_lo, s1
	s_cbranch_execz .LBB1_13
; %bb.11:
	global_load_b64 v[0:1], v[3:4], off
	v_add_co_u32 v2, s0, s24, v8
	s_delay_alu instid0(VALU_DEP_1) | instskip(SKIP_1) | instid1(VALU_DEP_2)
	v_add_co_ci_u32_e64 v3, null, s25, 0, s0
	s_mov_b64 s[6:7], s[2:3]
	v_add_co_u32 v2, vcc_lo, v2, 16
	s_delay_alu instid0(VALU_DEP_2) | instskip(NEXT) | instid1(VALU_DEP_2)
	v_add_co_ci_u32_e32 v3, vcc_lo, 0, v3, vcc_lo
	v_mul_lo_u32 v4, s5, v2
	v_mad_u64_u32 v[6:7], null, s4, v2, -16
	s_delay_alu instid0(VALU_DEP_3) | instskip(NEXT) | instid1(VALU_DEP_2)
	v_mul_lo_u32 v3, s4, v3
	v_add_co_u32 v2, vcc_lo, s18, v6
	s_delay_alu instid0(VALU_DEP_2) | instskip(NEXT) | instid1(VALU_DEP_1)
	v_add3_u32 v7, v4, v7, v3
	v_add_co_ci_u32_e32 v3, vcc_lo, s19, v7, vcc_lo
	v_add_co_u32 v4, vcc_lo, s20, v6
	v_add_co_ci_u32_e32 v5, vcc_lo, s21, v7, vcc_lo
	v_add_co_u32 v6, vcc_lo, s16, v6
	v_add_co_ci_u32_e32 v7, vcc_lo, s17, v7, vcc_lo
	.p2align	6
.LBB1_12:                               ; =>This Inner Loop Header: Depth=1
	global_load_b64 v[8:9], v[6:7], off
	global_load_b64 v[10:11], v[2:3], off
	s_add_u32 s6, s6, -1
	s_addc_u32 s7, s7, -1
	v_add_co_u32 v2, vcc_lo, v2, -8
	v_cmp_lt_u64_e64 s0, s[6:7], 2
	v_add_co_ci_u32_e32 v3, vcc_lo, -1, v3, vcc_lo
	v_add_co_u32 v6, vcc_lo, v6, -8
	v_add_co_ci_u32_e32 v7, vcc_lo, -1, v7, vcc_lo
	s_delay_alu instid0(VALU_DEP_4) | instskip(SKIP_4) | instid1(VALU_DEP_1)
	s_and_b32 vcc_lo, exec_lo, s0
	s_waitcnt vmcnt(0)
	v_fma_f64 v[0:1], v[8:9], v[0:1], v[10:11]
                                        ; implicit-def: $vgpr8
	global_store_b64 v[4:5], v[0:1], off
	v_add_co_u32 v4, s0, v4, -8
	v_add_co_ci_u32_e64 v5, s0, -1, v5, s0
	s_cbranch_vccz .LBB1_12
.LBB1_13:
	s_and_not1_saveexec_b32 s0, s1
	s_cbranch_execz .LBB1_16
; %bb.14:
	v_add_co_u32 v0, s0, s24, v8
	s_delay_alu instid0(VALU_DEP_1) | instskip(NEXT) | instid1(VALU_DEP_2)
	v_add_co_ci_u32_e64 v1, null, s25, 0, s0
	v_add_co_u32 v2, vcc_lo, v0, 16
	s_delay_alu instid0(VALU_DEP_2) | instskip(NEXT) | instid1(VALU_DEP_2)
	v_add_co_ci_u32_e32 v0, vcc_lo, 0, v1, vcc_lo
	v_mul_lo_u32 v6, s5, v2
	v_mad_u64_u32 v[4:5], null, s4, v2, s[20:21]
	s_delay_alu instid0(VALU_DEP_3) | instskip(SKIP_1) | instid1(VALU_DEP_2)
	v_mul_lo_u32 v3, s4, v0
	v_mad_u64_u32 v[8:9], null, s4, v2, -16
	v_add3_u32 v5, v6, v5, v3
	s_delay_alu instid0(VALU_DEP_2) | instskip(NEXT) | instid1(VALU_DEP_3)
	v_add3_u32 v9, v6, v9, v3
	v_add_co_u32 v2, vcc_lo, s18, v8
	global_load_b64 v[0:1], v[4:5], off offset:-8
	v_add_co_ci_u32_e32 v3, vcc_lo, s19, v9, vcc_lo
	v_add_co_u32 v6, vcc_lo, v4, -8
	v_add_co_ci_u32_e32 v7, vcc_lo, -1, v5, vcc_lo
	v_add_co_u32 v4, vcc_lo, s16, v8
	v_add_co_ci_u32_e32 v5, vcc_lo, s17, v9, vcc_lo
	.p2align	6
.LBB1_15:                               ; =>This Inner Loop Header: Depth=1
	global_load_b64 v[8:9], v[4:5], off
	global_load_b64 v[10:11], v[2:3], off
	s_add_u32 s2, s2, -1
	s_addc_u32 s3, s3, -1
	s_delay_alu instid0(SALU_CYCLE_1)
	v_cmp_lt_u64_e64 s0, s[2:3], 2
	s_waitcnt vmcnt(0)
	v_fma_f64 v[0:1], v[8:9], v[0:1], v[10:11]
	v_add_co_u32 v8, vcc_lo, v6, -8
	v_add_co_ci_u32_e32 v9, vcc_lo, -1, v7, vcc_lo
	v_add_co_u32 v2, vcc_lo, v2, -8
	v_add_co_ci_u32_e32 v3, vcc_lo, -1, v3, vcc_lo
	;; [unrolled: 2-line block ×3, first 2 shown]
	s_and_b32 vcc_lo, exec_lo, s0
	global_store_b64 v[6:7], v[0:1], off offset:-8
	v_dual_mov_b32 v6, v8 :: v_dual_mov_b32 v7, v9
	s_cbranch_vccz .LBB1_15
.LBB1_16:
	s_nop 0
	s_sendmsg sendmsg(MSG_DEALLOC_VGPRS)
	s_endpgm
	.section	.rodata,"a",@progbits
	.p2align	6, 0x0
	.amdhsa_kernel _ZN8rajaperf9polybench9poly_adi2ILm256EEEvldddddPdS2_S2_S2_
		.amdhsa_group_segment_fixed_size 0
		.amdhsa_private_segment_fixed_size 0
		.amdhsa_kernarg_size 80
		.amdhsa_user_sgpr_count 15
		.amdhsa_user_sgpr_dispatch_ptr 0
		.amdhsa_user_sgpr_queue_ptr 0
		.amdhsa_user_sgpr_kernarg_segment_ptr 1
		.amdhsa_user_sgpr_dispatch_id 0
		.amdhsa_user_sgpr_private_segment_size 0
		.amdhsa_wavefront_size32 1
		.amdhsa_uses_dynamic_stack 0
		.amdhsa_enable_private_segment 0
		.amdhsa_system_sgpr_workgroup_id_x 1
		.amdhsa_system_sgpr_workgroup_id_y 0
		.amdhsa_system_sgpr_workgroup_id_z 0
		.amdhsa_system_sgpr_workgroup_info 0
		.amdhsa_system_vgpr_workitem_id 0
		.amdhsa_next_free_vgpr 31
		.amdhsa_next_free_sgpr 29
		.amdhsa_reserve_vcc 1
		.amdhsa_float_round_mode_32 0
		.amdhsa_float_round_mode_16_64 0
		.amdhsa_float_denorm_mode_32 3
		.amdhsa_float_denorm_mode_16_64 3
		.amdhsa_dx10_clamp 1
		.amdhsa_ieee_mode 1
		.amdhsa_fp16_overflow 0
		.amdhsa_workgroup_processor_mode 1
		.amdhsa_memory_ordered 1
		.amdhsa_forward_progress 0
		.amdhsa_shared_vgpr_count 0
		.amdhsa_exception_fp_ieee_invalid_op 0
		.amdhsa_exception_fp_denorm_src 0
		.amdhsa_exception_fp_ieee_div_zero 0
		.amdhsa_exception_fp_ieee_overflow 0
		.amdhsa_exception_fp_ieee_underflow 0
		.amdhsa_exception_fp_ieee_inexact 0
		.amdhsa_exception_int_div_zero 0
	.end_amdhsa_kernel
	.section	.text._ZN8rajaperf9polybench9poly_adi2ILm256EEEvldddddPdS2_S2_S2_,"axG",@progbits,_ZN8rajaperf9polybench9poly_adi2ILm256EEEvldddddPdS2_S2_S2_,comdat
.Lfunc_end1:
	.size	_ZN8rajaperf9polybench9poly_adi2ILm256EEEvldddddPdS2_S2_S2_, .Lfunc_end1-_ZN8rajaperf9polybench9poly_adi2ILm256EEEvldddddPdS2_S2_S2_
                                        ; -- End function
	.section	.AMDGPU.csdata,"",@progbits
; Kernel info:
; codeLenInByte = 2412
; NumSgprs: 31
; NumVgprs: 31
; ScratchSize: 0
; MemoryBound: 0
; FloatMode: 240
; IeeeMode: 1
; LDSByteSize: 0 bytes/workgroup (compile time only)
; SGPRBlocks: 3
; VGPRBlocks: 3
; NumSGPRsForWavesPerEU: 31
; NumVGPRsForWavesPerEU: 31
; Occupancy: 16
; WaveLimiterHint : 0
; COMPUTE_PGM_RSRC2:SCRATCH_EN: 0
; COMPUTE_PGM_RSRC2:USER_SGPR: 15
; COMPUTE_PGM_RSRC2:TRAP_HANDLER: 0
; COMPUTE_PGM_RSRC2:TGID_X_EN: 1
; COMPUTE_PGM_RSRC2:TGID_Y_EN: 0
; COMPUTE_PGM_RSRC2:TGID_Z_EN: 0
; COMPUTE_PGM_RSRC2:TIDIG_COMP_CNT: 0
	.section	.text._ZN8rajaperf9polybench12poly_adi_lamILm256EZNS0_13POLYBENCH_ADI17runHipVariantImplILm256EEEvNS_9VariantIDEEUllE_EEvlT0_,"axG",@progbits,_ZN8rajaperf9polybench12poly_adi_lamILm256EZNS0_13POLYBENCH_ADI17runHipVariantImplILm256EEEvNS_9VariantIDEEUllE_EEvlT0_,comdat
	.protected	_ZN8rajaperf9polybench12poly_adi_lamILm256EZNS0_13POLYBENCH_ADI17runHipVariantImplILm256EEEvNS_9VariantIDEEUllE_EEvlT0_ ; -- Begin function _ZN8rajaperf9polybench12poly_adi_lamILm256EZNS0_13POLYBENCH_ADI17runHipVariantImplILm256EEEvNS_9VariantIDEEUllE_EEvlT0_
	.globl	_ZN8rajaperf9polybench12poly_adi_lamILm256EZNS0_13POLYBENCH_ADI17runHipVariantImplILm256EEEvNS_9VariantIDEEUllE_EEvlT0_
	.p2align	8
	.type	_ZN8rajaperf9polybench12poly_adi_lamILm256EZNS0_13POLYBENCH_ADI17runHipVariantImplILm256EEEvNS_9VariantIDEEUllE_EEvlT0_,@function
_ZN8rajaperf9polybench12poly_adi_lamILm256EZNS0_13POLYBENCH_ADI17runHipVariantImplILm256EEEvNS_9VariantIDEEUllE_EEvlT0_: ; @_ZN8rajaperf9polybench12poly_adi_lamILm256EZNS0_13POLYBENCH_ADI17runHipVariantImplILm256EEEvNS_9VariantIDEEUllE_EEvlT0_
; %bb.0:
	s_mov_b32 s24, s15
	s_load_b512 s[4:19], s[0:1], 0x0
	v_add_nc_u32_e32 v1, 1, v0
	s_mov_b32 s25, 0
	s_delay_alu instid0(SALU_CYCLE_1)
	s_lshl_b64 s[2:3], s[24:25], 8
	s_delay_alu instid0(VALU_DEP_1) | instid1(SALU_CYCLE_1)
	v_add_co_u32 v1, s20, s2, v1
	s_delay_alu instid0(VALU_DEP_1)
	v_add_co_ci_u32_e64 v2, null, s3, 0, s20
	s_waitcnt lgkmcnt(0)
	s_add_u32 s4, s4, -1
	s_addc_u32 s5, s5, -1
	s_delay_alu instid0(VALU_DEP_1) | instid1(SALU_CYCLE_1)
	v_cmp_gt_i64_e32 vcc_lo, s[4:5], v[1:2]
	s_and_saveexec_b32 s4, vcc_lo
	s_cbranch_execz .LBB2_14
; %bb.1:
	v_mul_lo_u32 v3, s9, v1
	v_mul_lo_u32 v6, s8, v2
	v_mad_u64_u32 v[4:5], null, s8, v1, 0
	v_add_co_u32 v1, s2, s2, v0
	s_delay_alu instid0(VALU_DEP_1) | instskip(SKIP_2) | instid1(VALU_DEP_4)
	v_add_co_ci_u32_e64 v2, null, s3, 0, s2
	v_cmp_lt_i64_e64 s20, s[8:9], 3
	s_add_u32 s2, s8, -1
	v_add3_u32 v5, v5, v6, v3
	s_delay_alu instid0(VALU_DEP_3)
	v_lshlrev_b64 v[1:2], 3, v[1:2]
	v_mov_b32_e32 v3, 0
	s_addc_u32 s3, s9, -1
	s_mov_b32 s5, -1
	v_lshlrev_b64 v[7:8], 3, v[4:5]
	v_mov_b32_e32 v4, 0x3ff00000
	v_add_co_u32 v5, vcc_lo, s6, v1
	v_add_co_ci_u32_e32 v6, vcc_lo, s7, v2, vcc_lo
	s_delay_alu instid0(VALU_DEP_4)
	v_add_co_u32 v11, vcc_lo, s10, v7
	v_mov_b32_e32 v9, v3
	v_mov_b32_e32 v10, v3
	v_add_co_ci_u32_e32 v12, vcc_lo, s11, v8, vcc_lo
	global_store_b64 v[5:6], v[3:4], off offset:8
	global_store_b64 v[11:12], v[9:10], off
	global_load_b64 v[9:10], v[5:6], off offset:8
	v_add_co_u32 v11, vcc_lo, s12, v7
	v_add_co_ci_u32_e32 v12, vcc_lo, s13, v8, vcc_lo
	s_mul_i32 s33, s2, s9
	s_mul_hi_u32 s34, s2, s8
	s_mul_i32 s4, s2, s8
	s_mul_i32 s35, s3, s8
	s_and_b32 vcc_lo, exec_lo, s20
	s_waitcnt vmcnt(0)
	global_store_b64 v[11:12], v[9:10], off
	s_cbranch_vccz .LBB2_3
; %bb.2:
	s_add_i32 s5, s34, s33
	s_delay_alu instid0(SALU_CYCLE_1) | instskip(NEXT) | instid1(SALU_CYCLE_1)
	s_add_i32 s5, s5, s35
	s_lshl_b64 s[20:21], s[4:5], 3
	s_delay_alu instid0(SALU_CYCLE_1)
	s_add_u32 s5, s6, s20
	s_addc_u32 s20, s7, s21
	v_add_co_u32 v9, vcc_lo, s5, v1
	v_add_co_ci_u32_e32 v10, vcc_lo, s20, v2, vcc_lo
	s_mov_b32 s5, 0
	global_store_b64 v[9:10], v[3:4], off offset:8
.LBB2_3:
	s_and_not1_b32 vcc_lo, exec_lo, s5
	s_cbranch_vccnz .LBB2_14
; %bb.4:
	s_clause 0x1
	s_load_b128 s[20:23], s[0:1], 0x40
	s_load_b64 s[26:27], s[0:1], 0x50
	v_lshlrev_b32_e32 v13, 3, v0
	s_lshl_b64 s[24:25], s[24:25], 11
	s_delay_alu instid0(VALU_DEP_1) | instid1(SALU_CYCLE_1)
	v_or_b32_e32 v3, s24, v13
	s_delay_alu instid0(VALU_DEP_1) | instskip(NEXT) | instid1(VALU_DEP_1)
	v_add_co_u32 v9, s5, v3, 16
	v_add_co_ci_u32_e64 v10, null, s25, 0, s5
	s_delay_alu instid0(VALU_DEP_2) | instskip(NEXT) | instid1(VALU_DEP_2)
	v_mad_u64_u32 v[11:12], null, s8, v9, s[10:11]
	v_mul_lo_u32 v16, s8, v10
	s_waitcnt lgkmcnt(0)
	v_fma_f64 v[3:4], s[20:21], 2.0, 1.0
	v_mul_lo_u32 v17, s9, v9
	v_mad_u64_u32 v[14:15], null, s8, v9, s[12:13]
	v_add_co_u32 v9, vcc_lo, s10, v7
	v_add_co_ci_u32_e32 v10, vcc_lo, s11, v8, vcc_lo
	s_delay_alu instid0(VALU_DEP_4) | instskip(NEXT) | instid1(VALU_DEP_4)
	v_add3_u32 v12, v17, v12, v16
	v_add3_u32 v18, v17, v15, v16
	v_add_co_u32 v15, vcc_lo, v11, -8
	s_delay_alu instid0(VALU_DEP_3) | instskip(SKIP_1) | instid1(VALU_DEP_4)
	v_add_co_ci_u32_e32 v16, vcc_lo, -1, v12, vcc_lo
	v_add_co_u32 v17, vcc_lo, v14, -8
	v_add_co_ci_u32_e32 v18, vcc_lo, -1, v18, vcc_lo
	v_add_co_u32 v11, vcc_lo, s12, v7
	v_add_co_ci_u32_e32 v12, vcc_lo, s13, v8, vcc_lo
	s_delay_alu instid0(VALU_DEP_3) | instskip(NEXT) | instid1(VALU_DEP_2)
	v_cmp_ge_u64_e32 vcc_lo, v[9:10], v[17:18]
	v_cmp_ge_u64_e64 s0, v[11:12], v[15:16]
	s_delay_alu instid0(VALU_DEP_1) | instskip(NEXT) | instid1(SALU_CYCLE_1)
	s_or_b32 s5, vcc_lo, s0
                                        ; implicit-def: $sgpr0_sgpr1
	s_and_saveexec_b32 s28, s5
	s_delay_alu instid0(SALU_CYCLE_1)
	s_xor_b32 s5, exec_lo, s28
	s_cbranch_execz .LBB2_8
; %bb.5:
	global_load_b64 v[9:10], v[9:10], off
	global_load_b64 v[11:12], v[11:12], off
	s_add_u32 s0, s8, -2
	v_add_co_u32 v14, vcc_lo, v7, 8
	s_addc_u32 s1, s9, -1
	s_lshl_b64 s[28:29], s[8:9], 3
	v_add_co_ci_u32_e32 v15, vcc_lo, 0, v8, vcc_lo
	s_add_u32 s30, s24, s28
	s_addc_u32 s31, s25, s29
	s_add_u32 s30, s22, s30
	v_add_co_u32 v7, vcc_lo, s12, v14
	s_addc_u32 s31, s23, s31
	v_add_co_u32 v16, s30, s30, v13
	v_add_co_ci_u32_e32 v8, vcc_lo, s13, v15, vcc_lo
	v_add_co_ci_u32_e64 v17, null, s31, 0, s30
	v_add_co_u32 v13, vcc_lo, s10, v14
	v_add_co_ci_u32_e32 v14, vcc_lo, s11, v15, vcc_lo
	v_add_co_u32 v15, vcc_lo, v16, 16
	s_delay_alu instid0(VALU_DEP_4)
	v_add_co_ci_u32_e32 v16, vcc_lo, 0, v17, vcc_lo
	s_mov_b64 s[30:31], s[0:1]
.LBB2_6:                                ; =>This Inner Loop Header: Depth=1
	s_waitcnt vmcnt(1)
	v_fma_f64 v[21:22], s[16:17], v[9:10], s[18:19]
	s_add_u32 s30, s30, -1
	s_addc_u32 s31, s31, -1
	s_delay_alu instid0(SALU_CYCLE_1) | instskip(NEXT) | instid1(VALU_DEP_1)
	s_cmp_eq_u64 s[30:31], 0
	v_div_scale_f64 v[9:10], null, v[21:22], v[21:22], -s[14:15]
	v_div_scale_f64 v[23:24], vcc_lo, -s[14:15], v[21:22], -s[14:15]
	s_delay_alu instid0(VALU_DEP_2) | instskip(SKIP_2) | instid1(VALU_DEP_1)
	v_rcp_f64_e32 v[17:18], v[9:10]
	s_waitcnt_depctr 0xfff
	v_fma_f64 v[19:20], -v[9:10], v[17:18], 1.0
	v_fma_f64 v[17:18], v[17:18], v[19:20], v[17:18]
	s_delay_alu instid0(VALU_DEP_1) | instskip(NEXT) | instid1(VALU_DEP_1)
	v_fma_f64 v[19:20], -v[9:10], v[17:18], 1.0
	v_fma_f64 v[17:18], v[17:18], v[19:20], v[17:18]
	s_delay_alu instid0(VALU_DEP_1) | instskip(NEXT) | instid1(VALU_DEP_1)
	v_mul_f64 v[19:20], v[23:24], v[17:18]
	v_fma_f64 v[9:10], -v[9:10], v[19:20], v[23:24]
	s_delay_alu instid0(VALU_DEP_1) | instskip(NEXT) | instid1(VALU_DEP_1)
	v_div_fmas_f64 v[9:10], v[9:10], v[17:18], v[19:20]
	v_div_fixup_f64 v[9:10], v[9:10], v[21:22], -s[14:15]
	global_store_b64 v[13:14], v[9:10], off
	s_clause 0x1
	global_load_b128 v[17:20], v[15:16], off offset:-16
	global_load_b64 v[23:24], v[15:16], off
	s_waitcnt vmcnt(1)
	v_mul_f64 v[17:18], s[20:21], v[17:18]
	s_delay_alu instid0(VALU_DEP_1) | instskip(SKIP_1) | instid1(VALU_DEP_1)
	v_fma_f64 v[17:18], v[3:4], v[19:20], -v[17:18]
	s_waitcnt vmcnt(0)
	v_fma_f64 v[17:18], -s[26:27], v[23:24], v[17:18]
	s_delay_alu instid0(VALU_DEP_1) | instskip(NEXT) | instid1(VALU_DEP_1)
	v_fma_f64 v[11:12], -s[16:17], v[11:12], v[17:18]
	v_div_scale_f64 v[17:18], null, v[21:22], v[21:22], v[11:12]
	v_div_scale_f64 v[25:26], vcc_lo, v[11:12], v[21:22], v[11:12]
	s_delay_alu instid0(VALU_DEP_2) | instskip(SKIP_2) | instid1(VALU_DEP_1)
	v_rcp_f64_e32 v[19:20], v[17:18]
	s_waitcnt_depctr 0xfff
	v_fma_f64 v[23:24], -v[17:18], v[19:20], 1.0
	v_fma_f64 v[19:20], v[19:20], v[23:24], v[19:20]
	s_delay_alu instid0(VALU_DEP_1) | instskip(NEXT) | instid1(VALU_DEP_1)
	v_fma_f64 v[23:24], -v[17:18], v[19:20], 1.0
	v_fma_f64 v[19:20], v[19:20], v[23:24], v[19:20]
	s_delay_alu instid0(VALU_DEP_1) | instskip(NEXT) | instid1(VALU_DEP_1)
	v_mul_f64 v[23:24], v[25:26], v[19:20]
	v_fma_f64 v[17:18], -v[17:18], v[23:24], v[25:26]
	s_delay_alu instid0(VALU_DEP_1)
	v_div_fmas_f64 v[17:18], v[17:18], v[19:20], v[23:24]
	v_add_co_u32 v13, vcc_lo, v13, 8
	v_add_co_ci_u32_e32 v14, vcc_lo, 0, v14, vcc_lo
	v_add_co_u32 v15, vcc_lo, v15, s28
	v_add_co_ci_u32_e32 v16, vcc_lo, s29, v16, vcc_lo
	v_div_fixup_f64 v[11:12], v[17:18], v[21:22], v[11:12]
	global_store_b64 v[7:8], v[11:12], off
	v_add_co_u32 v7, vcc_lo, v7, 8
	v_add_co_ci_u32_e32 v8, vcc_lo, 0, v8, vcc_lo
	s_cbranch_scc0 .LBB2_6
; %bb.7:
                                        ; implicit-def: $vgpr3_vgpr4
                                        ; implicit-def: $vgpr13
                                        ; implicit-def: $vgpr7_vgpr8
.LBB2_8:
	s_or_saveexec_b32 s5, s5
	v_add_co_u32 v11, vcc_lo, v5, 8
	v_add_co_ci_u32_e32 v12, vcc_lo, 0, v6, vcc_lo
	v_dual_mov_b32 v6, s1 :: v_dual_mov_b32 v5, s0
	s_xor_b32 exec_lo, exec_lo, s5
	s_cbranch_execz .LBB2_12
; %bb.9:
	s_lshl_b64 s[0:1], s[8:9], 3
	v_add_co_u32 v9, vcc_lo, v7, 8
	s_add_u32 s28, s24, s0
	s_addc_u32 s29, s25, s1
	s_add_u32 s22, s22, s28
	s_addc_u32 s23, s23, s29
	v_add_co_u32 v5, s22, s22, v13
	s_delay_alu instid0(VALU_DEP_1) | instskip(SKIP_1) | instid1(VALU_DEP_3)
	v_add_co_ci_u32_e64 v6, null, s23, 0, s22
	v_add_co_ci_u32_e32 v10, vcc_lo, 0, v8, vcc_lo
	v_add_co_u32 v5, vcc_lo, v5, 8
	s_delay_alu instid0(VALU_DEP_3) | instskip(SKIP_1) | instid1(VALU_DEP_4)
	v_add_co_ci_u32_e32 v6, vcc_lo, 0, v6, vcc_lo
	v_add_co_u32 v7, vcc_lo, s12, v9
	v_add_co_ci_u32_e32 v8, vcc_lo, s13, v10, vcc_lo
	v_add_co_u32 v9, vcc_lo, s10, v9
	s_add_u32 s22, s8, -2
	v_add_co_ci_u32_e32 v10, vcc_lo, s11, v10, vcc_lo
	s_addc_u32 s23, s9, -1
	s_delay_alu instid0(SALU_CYCLE_1)
	s_mov_b64 s[28:29], s[22:23]
.LBB2_10:                               ; =>This Inner Loop Header: Depth=1
	global_load_b64 v[13:14], v[9:10], off offset:-8
	s_add_u32 s28, s28, -1
	s_addc_u32 s29, s29, -1
	s_delay_alu instid0(SALU_CYCLE_1) | instskip(SKIP_2) | instid1(VALU_DEP_1)
	s_cmp_eq_u64 s[28:29], 0
	s_waitcnt vmcnt(0)
	v_fma_f64 v[17:18], s[16:17], v[13:14], s[18:19]
	v_div_scale_f64 v[13:14], null, v[17:18], v[17:18], -s[14:15]
	v_div_scale_f64 v[21:22], vcc_lo, -s[14:15], v[17:18], -s[14:15]
	s_delay_alu instid0(VALU_DEP_2) | instskip(SKIP_2) | instid1(VALU_DEP_1)
	v_rcp_f64_e32 v[15:16], v[13:14]
	s_waitcnt_depctr 0xfff
	v_fma_f64 v[19:20], -v[13:14], v[15:16], 1.0
	v_fma_f64 v[15:16], v[15:16], v[19:20], v[15:16]
	s_delay_alu instid0(VALU_DEP_1) | instskip(NEXT) | instid1(VALU_DEP_1)
	v_fma_f64 v[19:20], -v[13:14], v[15:16], 1.0
	v_fma_f64 v[15:16], v[15:16], v[19:20], v[15:16]
	s_delay_alu instid0(VALU_DEP_1) | instskip(NEXT) | instid1(VALU_DEP_1)
	v_mul_f64 v[19:20], v[21:22], v[15:16]
	v_fma_f64 v[13:14], -v[13:14], v[19:20], v[21:22]
	s_delay_alu instid0(VALU_DEP_1) | instskip(NEXT) | instid1(VALU_DEP_1)
	v_div_fmas_f64 v[13:14], v[13:14], v[15:16], v[19:20]
	v_div_fixup_f64 v[13:14], v[13:14], v[17:18], -s[14:15]
	global_store_b64 v[9:10], v[13:14], off
	s_clause 0x1
	global_load_b128 v[13:16], v[5:6], off offset:-8
	global_load_b64 v[19:20], v[5:6], off offset:8
	global_load_b64 v[21:22], v[7:8], off offset:-8
	s_waitcnt vmcnt(2)
	v_mul_f64 v[13:14], s[20:21], v[13:14]
	s_delay_alu instid0(VALU_DEP_1) | instskip(SKIP_1) | instid1(VALU_DEP_1)
	v_fma_f64 v[13:14], v[3:4], v[15:16], -v[13:14]
	s_waitcnt vmcnt(1)
	v_fma_f64 v[13:14], -s[26:27], v[19:20], v[13:14]
	s_waitcnt vmcnt(0)
	s_delay_alu instid0(VALU_DEP_1) | instskip(NEXT) | instid1(VALU_DEP_1)
	v_fma_f64 v[13:14], -s[16:17], v[21:22], v[13:14]
	v_div_scale_f64 v[15:16], null, v[17:18], v[17:18], v[13:14]
	v_div_scale_f64 v[23:24], vcc_lo, v[13:14], v[17:18], v[13:14]
	s_delay_alu instid0(VALU_DEP_2) | instskip(SKIP_2) | instid1(VALU_DEP_1)
	v_rcp_f64_e32 v[19:20], v[15:16]
	s_waitcnt_depctr 0xfff
	v_fma_f64 v[21:22], -v[15:16], v[19:20], 1.0
	v_fma_f64 v[19:20], v[19:20], v[21:22], v[19:20]
	s_delay_alu instid0(VALU_DEP_1) | instskip(NEXT) | instid1(VALU_DEP_1)
	v_fma_f64 v[21:22], -v[15:16], v[19:20], 1.0
	v_fma_f64 v[19:20], v[19:20], v[21:22], v[19:20]
	s_delay_alu instid0(VALU_DEP_1) | instskip(NEXT) | instid1(VALU_DEP_1)
	v_mul_f64 v[21:22], v[23:24], v[19:20]
	v_fma_f64 v[15:16], -v[15:16], v[21:22], v[23:24]
	s_delay_alu instid0(VALU_DEP_1)
	v_div_fmas_f64 v[15:16], v[15:16], v[19:20], v[21:22]
	v_add_co_u32 v9, vcc_lo, v9, 8
	v_add_co_ci_u32_e32 v10, vcc_lo, 0, v10, vcc_lo
	v_add_co_u32 v5, vcc_lo, v5, s0
	v_add_co_ci_u32_e32 v6, vcc_lo, s1, v6, vcc_lo
	v_div_fixup_f64 v[13:14], v[15:16], v[17:18], v[13:14]
	global_store_b64 v[7:8], v[13:14], off
	v_add_co_u32 v7, vcc_lo, v7, 8
	v_add_co_ci_u32_e32 v8, vcc_lo, 0, v8, vcc_lo
	s_cbranch_scc0 .LBB2_10
; %bb.11:
	v_dual_mov_b32 v5, s22 :: v_dual_mov_b32 v6, s23
.LBB2_12:
	s_or_b32 exec_lo, exec_lo, s5
	v_dual_mov_b32 v13, 0 :: v_dual_lshlrev_b32 v0, 3, v0
	s_add_i32 s0, s34, s33
	s_delay_alu instid0(VALU_DEP_2) | instskip(SKIP_1) | instid1(VALU_DEP_2)
	v_mul_lo_u32 v6, s8, v6
	s_add_i32 s5, s0, s35
	v_add_co_u32 v0, s1, s24, v0
	s_delay_alu instid0(VALU_DEP_1) | instskip(SKIP_1) | instid1(VALU_DEP_2)
	v_add_co_ci_u32_e64 v3, null, s25, 0, s1
	s_lshl_b64 s[0:1], s[4:5], 3
	v_add_co_u32 v0, vcc_lo, v0, 16
	s_delay_alu instid0(VALU_DEP_2) | instskip(SKIP_1) | instid1(VALU_DEP_2)
	v_add_co_ci_u32_e32 v3, vcc_lo, 0, v3, vcc_lo
	s_add_u32 s4, s6, s0
	v_mul_lo_u32 v15, s9, v0
	s_addc_u32 s5, s7, s1
	s_delay_alu instid0(VALU_DEP_2)
	v_mul_lo_u32 v14, s8, v3
	v_mad_u64_u32 v[3:4], null, s8, v0, -16
	v_add_co_u32 v7, vcc_lo, s4, v1
	v_add_co_ci_u32_e32 v8, vcc_lo, s5, v2, vcc_lo
	v_mul_lo_u32 v2, s9, v5
	v_mad_u64_u32 v[9:10], null, s8, v5, 0
	v_add3_u32 v4, v15, v4, v14
	v_add_co_u32 v0, vcc_lo, s12, v3
	v_mov_b32_e32 v14, 0x3ff00000
	s_lshl_b64 s[4:5], s[8:9], 3
	s_delay_alu instid0(VALU_DEP_3) | instskip(SKIP_3) | instid1(VALU_DEP_3)
	v_add_co_ci_u32_e32 v1, vcc_lo, s13, v4, vcc_lo
	v_add3_u32 v10, v10, v6, v2
	v_add_co_u32 v2, vcc_lo, s10, v3
	v_add_co_ci_u32_e32 v3, vcc_lo, s11, v4, vcc_lo
	v_lshlrev_b64 v[4:5], 3, v[9:10]
	s_sub_u32 s4, 0, s4
	s_subb_u32 s5, 0, s5
	global_store_b64 v[7:8], v[13:14], off offset:8
	.p2align	6
.LBB2_13:                               ; =>This Inner Loop Header: Depth=1
	v_add_co_u32 v6, vcc_lo, v11, s0
	v_add_co_ci_u32_e32 v7, vcc_lo, s1, v12, vcc_lo
	s_add_u32 s2, s2, -1
	global_load_b64 v[8:9], v[2:3], off
	global_load_b64 v[13:14], v[0:1], off
	;; [unrolled: 1-line block ×3, first 2 shown]
	s_addc_u32 s3, s3, -1
	s_delay_alu instid0(SALU_CYCLE_1)
	v_cmp_gt_u64_e64 s6, s[2:3], 1
	s_waitcnt vmcnt(0)
	v_fma_f64 v[6:7], v[8:9], v[6:7], v[13:14]
	v_add_co_u32 v8, vcc_lo, v11, v4
	v_add_co_ci_u32_e32 v9, vcc_lo, v12, v5, vcc_lo
	v_add_co_u32 v0, vcc_lo, v0, -8
	v_add_co_ci_u32_e32 v1, vcc_lo, -1, v1, vcc_lo
	v_add_co_u32 v2, vcc_lo, v2, -8
	v_add_co_ci_u32_e32 v3, vcc_lo, -1, v3, vcc_lo
	v_add_co_u32 v11, vcc_lo, v11, s4
	v_add_co_ci_u32_e32 v12, vcc_lo, s5, v12, vcc_lo
	s_and_b32 vcc_lo, exec_lo, s6
	global_store_b64 v[8:9], v[6:7], off
	s_cbranch_vccnz .LBB2_13
.LBB2_14:
	s_nop 0
	s_sendmsg sendmsg(MSG_DEALLOC_VGPRS)
	s_endpgm
	.section	.rodata,"a",@progbits
	.p2align	6, 0x0
	.amdhsa_kernel _ZN8rajaperf9polybench12poly_adi_lamILm256EZNS0_13POLYBENCH_ADI17runHipVariantImplILm256EEEvNS_9VariantIDEEUllE_EEvlT0_
		.amdhsa_group_segment_fixed_size 0
		.amdhsa_private_segment_fixed_size 0
		.amdhsa_kernarg_size 88
		.amdhsa_user_sgpr_count 15
		.amdhsa_user_sgpr_dispatch_ptr 0
		.amdhsa_user_sgpr_queue_ptr 0
		.amdhsa_user_sgpr_kernarg_segment_ptr 1
		.amdhsa_user_sgpr_dispatch_id 0
		.amdhsa_user_sgpr_private_segment_size 0
		.amdhsa_wavefront_size32 1
		.amdhsa_uses_dynamic_stack 0
		.amdhsa_enable_private_segment 0
		.amdhsa_system_sgpr_workgroup_id_x 1
		.amdhsa_system_sgpr_workgroup_id_y 0
		.amdhsa_system_sgpr_workgroup_id_z 0
		.amdhsa_system_sgpr_workgroup_info 0
		.amdhsa_system_vgpr_workitem_id 0
		.amdhsa_next_free_vgpr 27
		.amdhsa_next_free_sgpr 36
		.amdhsa_reserve_vcc 1
		.amdhsa_float_round_mode_32 0
		.amdhsa_float_round_mode_16_64 0
		.amdhsa_float_denorm_mode_32 3
		.amdhsa_float_denorm_mode_16_64 3
		.amdhsa_dx10_clamp 1
		.amdhsa_ieee_mode 1
		.amdhsa_fp16_overflow 0
		.amdhsa_workgroup_processor_mode 1
		.amdhsa_memory_ordered 1
		.amdhsa_forward_progress 0
		.amdhsa_shared_vgpr_count 0
		.amdhsa_exception_fp_ieee_invalid_op 0
		.amdhsa_exception_fp_denorm_src 0
		.amdhsa_exception_fp_ieee_div_zero 0
		.amdhsa_exception_fp_ieee_overflow 0
		.amdhsa_exception_fp_ieee_underflow 0
		.amdhsa_exception_fp_ieee_inexact 0
		.amdhsa_exception_int_div_zero 0
	.end_amdhsa_kernel
	.section	.text._ZN8rajaperf9polybench12poly_adi_lamILm256EZNS0_13POLYBENCH_ADI17runHipVariantImplILm256EEEvNS_9VariantIDEEUllE_EEvlT0_,"axG",@progbits,_ZN8rajaperf9polybench12poly_adi_lamILm256EZNS0_13POLYBENCH_ADI17runHipVariantImplILm256EEEvNS_9VariantIDEEUllE_EEvlT0_,comdat
.Lfunc_end2:
	.size	_ZN8rajaperf9polybench12poly_adi_lamILm256EZNS0_13POLYBENCH_ADI17runHipVariantImplILm256EEEvNS_9VariantIDEEUllE_EEvlT0_, .Lfunc_end2-_ZN8rajaperf9polybench12poly_adi_lamILm256EZNS0_13POLYBENCH_ADI17runHipVariantImplILm256EEEvNS_9VariantIDEEUllE_EEvlT0_
                                        ; -- End function
	.section	.AMDGPU.csdata,"",@progbits
; Kernel info:
; codeLenInByte = 1932
; NumSgprs: 38
; NumVgprs: 27
; ScratchSize: 0
; MemoryBound: 0
; FloatMode: 240
; IeeeMode: 1
; LDSByteSize: 0 bytes/workgroup (compile time only)
; SGPRBlocks: 4
; VGPRBlocks: 3
; NumSGPRsForWavesPerEU: 38
; NumVGPRsForWavesPerEU: 27
; Occupancy: 16
; WaveLimiterHint : 0
; COMPUTE_PGM_RSRC2:SCRATCH_EN: 0
; COMPUTE_PGM_RSRC2:USER_SGPR: 15
; COMPUTE_PGM_RSRC2:TRAP_HANDLER: 0
; COMPUTE_PGM_RSRC2:TGID_X_EN: 1
; COMPUTE_PGM_RSRC2:TGID_Y_EN: 0
; COMPUTE_PGM_RSRC2:TGID_Z_EN: 0
; COMPUTE_PGM_RSRC2:TIDIG_COMP_CNT: 0
	.section	.text._ZN8rajaperf9polybench12poly_adi_lamILm256EZNS0_13POLYBENCH_ADI17runHipVariantImplILm256EEEvNS_9VariantIDEEUllE0_EEvlT0_,"axG",@progbits,_ZN8rajaperf9polybench12poly_adi_lamILm256EZNS0_13POLYBENCH_ADI17runHipVariantImplILm256EEEvNS_9VariantIDEEUllE0_EEvlT0_,comdat
	.protected	_ZN8rajaperf9polybench12poly_adi_lamILm256EZNS0_13POLYBENCH_ADI17runHipVariantImplILm256EEEvNS_9VariantIDEEUllE0_EEvlT0_ ; -- Begin function _ZN8rajaperf9polybench12poly_adi_lamILm256EZNS0_13POLYBENCH_ADI17runHipVariantImplILm256EEEvNS_9VariantIDEEUllE0_EEvlT0_
	.globl	_ZN8rajaperf9polybench12poly_adi_lamILm256EZNS0_13POLYBENCH_ADI17runHipVariantImplILm256EEEvNS_9VariantIDEEUllE0_EEvlT0_
	.p2align	8
	.type	_ZN8rajaperf9polybench12poly_adi_lamILm256EZNS0_13POLYBENCH_ADI17runHipVariantImplILm256EEEvNS_9VariantIDEEUllE0_EEvlT0_,@function
_ZN8rajaperf9polybench12poly_adi_lamILm256EZNS0_13POLYBENCH_ADI17runHipVariantImplILm256EEEvNS_9VariantIDEEUllE0_EEvlT0_: ; @_ZN8rajaperf9polybench12poly_adi_lamILm256EZNS0_13POLYBENCH_ADI17runHipVariantImplILm256EEEvNS_9VariantIDEEUllE0_EEvlT0_
; %bb.0:
	s_mov_b32 s2, s15
	s_load_b512 s[4:19], s[0:1], 0x0
	v_add_nc_u32_e32 v1, 1, v0
	s_mov_b32 s3, 0
	s_delay_alu instid0(SALU_CYCLE_1)
	s_lshl_b64 s[24:25], s[2:3], 8
	s_delay_alu instid0(VALU_DEP_1) | instid1(SALU_CYCLE_1)
	v_add_co_u32 v3, s20, s24, v1
	s_delay_alu instid0(VALU_DEP_1)
	v_add_co_ci_u32_e64 v4, null, s25, 0, s20
	s_waitcnt lgkmcnt(0)
	s_add_u32 s4, s4, -1
	s_addc_u32 s5, s5, -1
	s_delay_alu instid0(VALU_DEP_1) | instid1(SALU_CYCLE_1)
	v_cmp_gt_i64_e32 vcc_lo, s[4:5], v[3:4]
	s_and_saveexec_b32 s4, vcc_lo
	s_cbranch_execz .LBB3_14
; %bb.1:
	v_mul_lo_u32 v1, s9, v3
	v_mul_lo_u32 v2, s8, v4
	v_mad_u64_u32 v[9:10], null, s8, v3, 0
	v_cmp_gt_i64_e64 s28, s[8:9], 2
	s_delay_alu instid0(VALU_DEP_2) | instskip(SKIP_1) | instid1(VALU_DEP_2)
	v_add3_u32 v10, v10, v2, v1
	v_dual_mov_b32 v1, 0 :: v_dual_mov_b32 v2, 0x3ff00000
	v_lshlrev_b64 v[5:6], 3, v[9:10]
	s_delay_alu instid0(VALU_DEP_1) | instskip(NEXT) | instid1(VALU_DEP_2)
	v_add_co_u32 v7, vcc_lo, s6, v5
	v_add_co_ci_u32_e32 v8, vcc_lo, s7, v6, vcc_lo
	v_add_co_u32 v11, vcc_lo, s10, v5
	v_add_co_ci_u32_e32 v12, vcc_lo, s11, v6, vcc_lo
	global_store_b64 v[7:8], v[1:2], off
	v_mov_b32_e32 v2, v1
	global_store_b64 v[11:12], v[1:2], off
	global_load_b64 v[1:2], v[7:8], off
	v_add_co_u32 v7, vcc_lo, s12, v5
	v_add_co_ci_u32_e32 v8, vcc_lo, s13, v6, vcc_lo
	s_and_b32 vcc_lo, exec_lo, s28
	s_waitcnt vmcnt(0)
	global_store_b64 v[7:8], v[1:2], off
	s_cbranch_vccnz .LBB3_3
; %bb.2:
	v_mad_u64_u32 v[1:2], null, s8, v3, s[8:9]
	v_mul_lo_u32 v4, s8, v4
	v_mul_lo_u32 v3, s9, v3
	s_mov_b32 s4, s3
	s_delay_alu instid0(VALU_DEP_1)
	v_add3_u32 v2, v3, v2, v4
	s_and_not1_b32 vcc_lo, exec_lo, s4
	s_cbranch_vccz .LBB3_4
	s_branch .LBB3_11
.LBB3_3:
                                        ; implicit-def: $vgpr1_vgpr2
.LBB3_4:
	s_lshl_b64 s[30:31], s[8:9], 1
	s_add_u32 s4, s8, -2
	s_addc_u32 s5, s9, -1
	s_lshl_b64 s[26:27], s[2:3], 11
	s_load_b128 s[20:23], s[0:1], 0x40
	v_lshl_or_b32 v1, v0, 3, s26
	s_delay_alu instid0(VALU_DEP_1) | instskip(NEXT) | instid1(VALU_DEP_1)
	v_add_co_u32 v1, s26, v1, 16
	v_add_co_ci_u32_e64 v2, null, s27, 0, s26
	s_load_b64 s[26:27], s[0:1], 0x50
	s_delay_alu instid0(VALU_DEP_2) | instskip(SKIP_1) | instid1(VALU_DEP_3)
	v_mul_lo_u32 v3, s9, v1
	v_mad_u64_u32 v[7:8], null, s8, v1, 0
	v_mul_lo_u32 v2, s8, v2
	s_delay_alu instid0(VALU_DEP_2) | instskip(NEXT) | instid1(VALU_DEP_2)
	v_add_co_u32 v1, vcc_lo, s10, v7
	v_add3_u32 v8, v8, v2, v3
	s_waitcnt lgkmcnt(0)
	v_fma_f64 v[3:4], s[20:21], 2.0, 1.0
	s_delay_alu instid0(VALU_DEP_2) | instskip(SKIP_3) | instid1(VALU_DEP_4)
	v_add_co_ci_u32_e32 v2, vcc_lo, s11, v8, vcc_lo
	v_add_co_u32 v11, vcc_lo, s10, v5
	v_add_co_ci_u32_e32 v12, vcc_lo, s11, v6, vcc_lo
	v_add_co_u32 v1, vcc_lo, v1, -8
	v_add_co_ci_u32_e32 v2, vcc_lo, -1, v2, vcc_lo
	v_add_co_u32 v15, vcc_lo, s12, v7
	v_add_co_ci_u32_e32 v16, vcc_lo, s13, v8, vcc_lo
	v_add_co_u32 v13, vcc_lo, s12, v5
	v_add_co_ci_u32_e32 v14, vcc_lo, s13, v6, vcc_lo
	s_delay_alu instid0(VALU_DEP_4) | instskip(NEXT) | instid1(VALU_DEP_4)
	v_add_co_u32 v15, vcc_lo, v15, -8
	v_add_co_ci_u32_e32 v16, vcc_lo, -1, v16, vcc_lo
	v_sub_co_u32 v9, vcc_lo, v9, s8
	v_subrev_co_ci_u32_e32 v10, vcc_lo, s9, v10, vcc_lo
	s_delay_alu instid0(VALU_DEP_3) | instskip(SKIP_1) | instid1(VALU_DEP_4)
	v_cmp_ge_u64_e32 vcc_lo, v[11:12], v[15:16]
	v_cmp_ge_u64_e64 s0, v[13:14], v[1:2]
	v_add_co_u32 v1, s1, v9, s30
	s_delay_alu instid0(VALU_DEP_1) | instskip(NEXT) | instid1(VALU_DEP_3)
	v_add_co_ci_u32_e64 v2, s1, s31, v10, s1
	s_or_b32 s0, vcc_lo, s0
	s_delay_alu instid0(SALU_CYCLE_1) | instskip(NEXT) | instid1(SALU_CYCLE_1)
	s_and_saveexec_b32 s1, s0
	s_xor_b32 s29, exec_lo, s1
	s_cbranch_execz .LBB3_7
; %bb.5:
	global_load_b64 v[9:10], v[11:12], off
	global_load_b64 v[11:12], v[13:14], off
	v_add_co_u32 v13, s0, s24, v0
	s_delay_alu instid0(VALU_DEP_1) | instskip(SKIP_1) | instid1(VALU_DEP_3)
	v_add_co_ci_u32_e64 v14, null, s25, 0, s0
	v_add_co_u32 v21, vcc_lo, v5, 8
	v_mul_lo_u32 v17, s9, v13
	s_delay_alu instid0(VALU_DEP_3) | instskip(SKIP_4) | instid1(VALU_DEP_3)
	v_mul_lo_u32 v14, s8, v14
	v_mad_u64_u32 v[15:16], null, s8, v13, 0
	v_add_co_ci_u32_e32 v22, vcc_lo, 0, v6, vcc_lo
	v_add_co_u32 v13, vcc_lo, s12, v21
	s_mov_b64 s[0:1], s[4:5]
	v_add3_u32 v16, v16, v14, v17
	s_delay_alu instid0(VALU_DEP_3) | instskip(NEXT) | instid1(VALU_DEP_2)
	v_add_co_ci_u32_e32 v14, vcc_lo, s13, v22, vcc_lo
	v_lshlrev_b64 v[5:6], 3, v[15:16]
	v_add_co_u32 v15, vcc_lo, s10, v21
	v_add_co_ci_u32_e32 v16, vcc_lo, s11, v22, vcc_lo
	s_delay_alu instid0(VALU_DEP_3) | instskip(NEXT) | instid1(VALU_DEP_4)
	v_add_co_u32 v5, vcc_lo, v5, s22
	v_add_co_ci_u32_e32 v6, vcc_lo, s23, v6, vcc_lo
	v_add_co_u32 v7, vcc_lo, v7, s22
	v_add_co_ci_u32_e32 v8, vcc_lo, s23, v8, vcc_lo
	s_delay_alu instid0(VALU_DEP_4) | instskip(NEXT) | instid1(VALU_DEP_4)
	v_add_co_u32 v17, vcc_lo, v5, 8
	v_add_co_ci_u32_e32 v18, vcc_lo, 0, v6, vcc_lo
	s_delay_alu instid0(VALU_DEP_4) | instskip(NEXT) | instid1(VALU_DEP_4)
	v_add_co_u32 v19, vcc_lo, v7, 8
	v_add_co_ci_u32_e32 v20, vcc_lo, 0, v8, vcc_lo
	v_add_co_u32 v21, vcc_lo, s22, v21
	v_add_co_ci_u32_e32 v22, vcc_lo, s23, v22, vcc_lo
.LBB3_6:                                ; =>This Inner Loop Header: Depth=1
	s_waitcnt vmcnt(1)
	v_fma_f64 v[5:6], s[16:17], v[9:10], s[18:19]
	s_add_u32 s0, s0, -1
	s_addc_u32 s1, s1, -1
	s_delay_alu instid0(SALU_CYCLE_1) | instskip(NEXT) | instid1(VALU_DEP_1)
	s_cmp_eq_u64 s[0:1], 0
	v_div_scale_f64 v[7:8], null, v[5:6], v[5:6], -s[14:15]
	v_div_scale_f64 v[25:26], vcc_lo, -s[14:15], v[5:6], -s[14:15]
	s_delay_alu instid0(VALU_DEP_2) | instskip(SKIP_2) | instid1(VALU_DEP_1)
	v_rcp_f64_e32 v[9:10], v[7:8]
	s_waitcnt_depctr 0xfff
	v_fma_f64 v[23:24], -v[7:8], v[9:10], 1.0
	v_fma_f64 v[9:10], v[9:10], v[23:24], v[9:10]
	s_delay_alu instid0(VALU_DEP_1) | instskip(NEXT) | instid1(VALU_DEP_1)
	v_fma_f64 v[23:24], -v[7:8], v[9:10], 1.0
	v_fma_f64 v[9:10], v[9:10], v[23:24], v[9:10]
	s_delay_alu instid0(VALU_DEP_1) | instskip(NEXT) | instid1(VALU_DEP_1)
	v_mul_f64 v[23:24], v[25:26], v[9:10]
	v_fma_f64 v[7:8], -v[7:8], v[23:24], v[25:26]
	s_delay_alu instid0(VALU_DEP_1) | instskip(NEXT) | instid1(VALU_DEP_1)
	v_div_fmas_f64 v[7:8], v[7:8], v[9:10], v[23:24]
	v_div_fixup_f64 v[9:10], v[7:8], v[5:6], -s[14:15]
	global_store_b64 v[15:16], v[9:10], off
	global_load_b64 v[7:8], v[17:18], off
	global_load_b64 v[23:24], v[21:22], off
	global_load_b64 v[25:26], v[19:20], off
	s_waitcnt vmcnt(2)
	v_mul_f64 v[7:8], s[20:21], v[7:8]
	s_waitcnt vmcnt(1)
	s_delay_alu instid0(VALU_DEP_1) | instskip(SKIP_1) | instid1(VALU_DEP_1)
	v_fma_f64 v[7:8], v[3:4], v[23:24], -v[7:8]
	s_waitcnt vmcnt(0)
	v_fma_f64 v[7:8], -s[26:27], v[25:26], v[7:8]
	s_delay_alu instid0(VALU_DEP_1) | instskip(NEXT) | instid1(VALU_DEP_1)
	v_fma_f64 v[7:8], -s[16:17], v[11:12], v[7:8]
	v_div_scale_f64 v[11:12], null, v[5:6], v[5:6], v[7:8]
	v_div_scale_f64 v[27:28], vcc_lo, v[7:8], v[5:6], v[7:8]
	s_delay_alu instid0(VALU_DEP_2) | instskip(SKIP_2) | instid1(VALU_DEP_1)
	v_rcp_f64_e32 v[23:24], v[11:12]
	s_waitcnt_depctr 0xfff
	v_fma_f64 v[25:26], -v[11:12], v[23:24], 1.0
	v_fma_f64 v[23:24], v[23:24], v[25:26], v[23:24]
	s_delay_alu instid0(VALU_DEP_1) | instskip(NEXT) | instid1(VALU_DEP_1)
	v_fma_f64 v[25:26], -v[11:12], v[23:24], 1.0
	v_fma_f64 v[23:24], v[23:24], v[25:26], v[23:24]
	s_delay_alu instid0(VALU_DEP_1) | instskip(NEXT) | instid1(VALU_DEP_1)
	v_mul_f64 v[25:26], v[27:28], v[23:24]
	v_fma_f64 v[11:12], -v[11:12], v[25:26], v[27:28]
	s_delay_alu instid0(VALU_DEP_1)
	v_div_fmas_f64 v[11:12], v[11:12], v[23:24], v[25:26]
	v_add_co_u32 v15, vcc_lo, v15, 8
	v_add_co_ci_u32_e32 v16, vcc_lo, 0, v16, vcc_lo
	v_add_co_u32 v17, vcc_lo, v17, 8
	v_add_co_ci_u32_e32 v18, vcc_lo, 0, v18, vcc_lo
	;; [unrolled: 2-line block ×4, first 2 shown]
	v_div_fixup_f64 v[11:12], v[11:12], v[5:6], v[7:8]
                                        ; implicit-def: $vgpr5_vgpr6
                                        ; implicit-def: $vgpr7_vgpr8
	global_store_b64 v[13:14], v[11:12], off
	v_add_co_u32 v13, vcc_lo, v13, 8
	v_add_co_ci_u32_e32 v14, vcc_lo, 0, v14, vcc_lo
	s_cbranch_scc0 .LBB3_6
.LBB3_7:
	s_and_not1_saveexec_b32 s0, s29
	s_cbranch_execz .LBB3_10
; %bb.8:
	v_add_co_u32 v9, s1, s24, v0
	s_delay_alu instid0(VALU_DEP_1) | instskip(SKIP_1) | instid1(VALU_DEP_3)
	v_add_co_ci_u32_e64 v10, null, s25, 0, s1
	v_add_co_u32 v15, vcc_lo, v5, 8
	v_mul_lo_u32 v13, s9, v9
	s_delay_alu instid0(VALU_DEP_3) | instskip(SKIP_3) | instid1(VALU_DEP_2)
	v_mul_lo_u32 v10, s8, v10
	v_mad_u64_u32 v[11:12], null, s8, v9, 0
	v_add_co_ci_u32_e32 v16, vcc_lo, 0, v6, vcc_lo
	v_add_co_u32 v5, vcc_lo, s22, v15
	v_add_co_ci_u32_e32 v6, vcc_lo, s23, v16, vcc_lo
	s_delay_alu instid0(VALU_DEP_4) | instskip(SKIP_2) | instid1(VALU_DEP_3)
	v_add3_u32 v12, v12, v10, v13
	v_add_co_u32 v9, vcc_lo, s12, v15
	v_add_co_ci_u32_e32 v10, vcc_lo, s13, v16, vcc_lo
	v_lshlrev_b64 v[13:14], 3, v[11:12]
	v_add_co_u32 v11, vcc_lo, s10, v15
	v_add_co_ci_u32_e32 v12, vcc_lo, s11, v16, vcc_lo
	s_delay_alu instid0(VALU_DEP_3) | instskip(NEXT) | instid1(VALU_DEP_4)
	v_add_co_u32 v13, vcc_lo, v13, s22
	v_add_co_ci_u32_e32 v14, vcc_lo, s23, v14, vcc_lo
	v_add_co_u32 v15, vcc_lo, v7, s22
	v_add_co_ci_u32_e32 v16, vcc_lo, s23, v8, vcc_lo
	s_delay_alu instid0(VALU_DEP_4) | instskip(NEXT) | instid1(VALU_DEP_4)
	v_add_co_u32 v7, vcc_lo, v13, 8
	v_add_co_ci_u32_e32 v8, vcc_lo, 0, v14, vcc_lo
	s_delay_alu instid0(VALU_DEP_4) | instskip(NEXT) | instid1(VALU_DEP_4)
	v_add_co_u32 v13, vcc_lo, v15, 8
	v_add_co_ci_u32_e32 v14, vcc_lo, 0, v16, vcc_lo
.LBB3_9:                                ; =>This Inner Loop Header: Depth=1
	global_load_b64 v[15:16], v[11:12], off offset:-8
	s_add_u32 s4, s4, -1
	s_addc_u32 s5, s5, -1
	s_delay_alu instid0(SALU_CYCLE_1) | instskip(SKIP_2) | instid1(VALU_DEP_1)
	s_cmp_eq_u64 s[4:5], 0
	s_waitcnt vmcnt(0)
	v_fma_f64 v[15:16], s[16:17], v[15:16], s[18:19]
	v_div_scale_f64 v[17:18], null, v[15:16], v[15:16], -s[14:15]
	v_div_scale_f64 v[23:24], vcc_lo, -s[14:15], v[15:16], -s[14:15]
	s_delay_alu instid0(VALU_DEP_2) | instskip(SKIP_2) | instid1(VALU_DEP_1)
	v_rcp_f64_e32 v[19:20], v[17:18]
	s_waitcnt_depctr 0xfff
	v_fma_f64 v[21:22], -v[17:18], v[19:20], 1.0
	v_fma_f64 v[19:20], v[19:20], v[21:22], v[19:20]
	s_delay_alu instid0(VALU_DEP_1) | instskip(NEXT) | instid1(VALU_DEP_1)
	v_fma_f64 v[21:22], -v[17:18], v[19:20], 1.0
	v_fma_f64 v[19:20], v[19:20], v[21:22], v[19:20]
	s_delay_alu instid0(VALU_DEP_1) | instskip(NEXT) | instid1(VALU_DEP_1)
	v_mul_f64 v[21:22], v[23:24], v[19:20]
	v_fma_f64 v[17:18], -v[17:18], v[21:22], v[23:24]
	s_delay_alu instid0(VALU_DEP_1) | instskip(NEXT) | instid1(VALU_DEP_1)
	v_div_fmas_f64 v[17:18], v[17:18], v[19:20], v[21:22]
	v_div_fixup_f64 v[17:18], v[17:18], v[15:16], -s[14:15]
	global_store_b64 v[11:12], v[17:18], off
	global_load_b64 v[17:18], v[7:8], off
	global_load_b64 v[19:20], v[5:6], off
	;; [unrolled: 1-line block ×3, first 2 shown]
	global_load_b64 v[23:24], v[9:10], off offset:-8
	s_waitcnt vmcnt(3)
	v_mul_f64 v[17:18], s[20:21], v[17:18]
	s_waitcnt vmcnt(2)
	s_delay_alu instid0(VALU_DEP_1) | instskip(SKIP_1) | instid1(VALU_DEP_1)
	v_fma_f64 v[17:18], v[3:4], v[19:20], -v[17:18]
	s_waitcnt vmcnt(1)
	v_fma_f64 v[17:18], -s[26:27], v[21:22], v[17:18]
	s_waitcnt vmcnt(0)
	s_delay_alu instid0(VALU_DEP_1) | instskip(NEXT) | instid1(VALU_DEP_1)
	v_fma_f64 v[17:18], -s[16:17], v[23:24], v[17:18]
	v_div_scale_f64 v[19:20], null, v[15:16], v[15:16], v[17:18]
	v_div_scale_f64 v[25:26], vcc_lo, v[17:18], v[15:16], v[17:18]
	s_delay_alu instid0(VALU_DEP_2) | instskip(SKIP_2) | instid1(VALU_DEP_1)
	v_rcp_f64_e32 v[21:22], v[19:20]
	s_waitcnt_depctr 0xfff
	v_fma_f64 v[23:24], -v[19:20], v[21:22], 1.0
	v_fma_f64 v[21:22], v[21:22], v[23:24], v[21:22]
	s_delay_alu instid0(VALU_DEP_1) | instskip(NEXT) | instid1(VALU_DEP_1)
	v_fma_f64 v[23:24], -v[19:20], v[21:22], 1.0
	v_fma_f64 v[21:22], v[21:22], v[23:24], v[21:22]
	s_delay_alu instid0(VALU_DEP_1) | instskip(NEXT) | instid1(VALU_DEP_1)
	v_mul_f64 v[23:24], v[25:26], v[21:22]
	v_fma_f64 v[19:20], -v[19:20], v[23:24], v[25:26]
	s_delay_alu instid0(VALU_DEP_1)
	v_div_fmas_f64 v[19:20], v[19:20], v[21:22], v[23:24]
	v_add_co_u32 v11, vcc_lo, v11, 8
	v_add_co_ci_u32_e32 v12, vcc_lo, 0, v12, vcc_lo
	v_add_co_u32 v5, vcc_lo, v5, 8
	v_add_co_ci_u32_e32 v6, vcc_lo, 0, v6, vcc_lo
	;; [unrolled: 2-line block ×4, first 2 shown]
	v_div_fixup_f64 v[15:16], v[19:20], v[15:16], v[17:18]
	global_store_b64 v[9:10], v[15:16], off
	v_add_co_u32 v9, vcc_lo, v9, 8
	v_add_co_ci_u32_e32 v10, vcc_lo, 0, v10, vcc_lo
	s_cbranch_scc0 .LBB3_9
.LBB3_10:
	s_or_b32 exec_lo, exec_lo, s0
.LBB3_11:
	s_delay_alu instid0(VALU_DEP_1) | instskip(SKIP_1) | instid1(VALU_DEP_2)
	v_lshlrev_b64 v[1:2], 3, v[1:2]
	v_dual_mov_b32 v3, 0 :: v_dual_mov_b32 v4, 0x3ff00000
	v_add_co_u32 v1, vcc_lo, s6, v1
	s_delay_alu instid0(VALU_DEP_3)
	v_add_co_ci_u32_e32 v2, vcc_lo, s7, v2, vcc_lo
	s_and_not1_b32 vcc_lo, exec_lo, s28
	global_store_b64 v[1:2], v[3:4], off offset:-8
	s_cbranch_vccnz .LBB3_14
; %bb.12:
	v_add_co_u32 v1, s0, s24, v0
	s_delay_alu instid0(VALU_DEP_1) | instskip(SKIP_1) | instid1(VALU_DEP_2)
	v_add_co_ci_u32_e64 v2, null, s25, 0, s0
	s_lshl_b64 s[0:1], s[2:3], 11
	v_add_co_u32 v3, vcc_lo, v1, 2
	s_delay_alu instid0(VALU_DEP_2) | instskip(SKIP_1) | instid1(VALU_DEP_3)
	v_add_co_ci_u32_e32 v1, vcc_lo, 0, v2, vcc_lo
	v_lshl_or_b32 v0, v0, 3, s0
	v_mul_lo_u32 v4, s9, v3
	s_add_u32 s2, s8, -1
	s_delay_alu instid0(VALU_DEP_3) | instskip(SKIP_2) | instid1(VALU_DEP_1)
	v_mul_lo_u32 v5, s8, v1
	v_mad_u64_u32 v[1:2], null, s8, v3, 0
	v_add_co_u32 v0, s0, v0, 16
	v_add_co_ci_u32_e64 v3, null, s1, 0, s0
	s_addc_u32 s3, s9, -1
	s_delay_alu instid0(VALU_DEP_2) | instskip(NEXT) | instid1(VALU_DEP_4)
	v_mad_u64_u32 v[7:8], null, s8, v0, -16
	v_add3_u32 v2, v2, v5, v4
	s_delay_alu instid0(VALU_DEP_3) | instskip(SKIP_1) | instid1(VALU_DEP_3)
	v_mul_lo_u32 v3, s8, v3
	v_mul_lo_u32 v4, s9, v0
	v_lshlrev_b64 v[1:2], 3, v[1:2]
	s_delay_alu instid0(VALU_DEP_2) | instskip(NEXT) | instid1(VALU_DEP_2)
	v_add3_u32 v0, v4, v8, v3
	v_add_co_u32 v1, vcc_lo, s6, v1
	s_delay_alu instid0(VALU_DEP_3) | instskip(SKIP_1) | instid1(VALU_DEP_4)
	v_add_co_ci_u32_e32 v2, vcc_lo, s7, v2, vcc_lo
	v_add_co_u32 v3, vcc_lo, s12, v7
	v_add_co_ci_u32_e32 v4, vcc_lo, s13, v0, vcc_lo
	global_load_b64 v[1:2], v[1:2], off offset:-8
	v_add_co_u32 v5, vcc_lo, s10, v7
	v_add_co_ci_u32_e32 v6, vcc_lo, s11, v0, vcc_lo
	v_add_co_u32 v7, vcc_lo, s6, v7
	v_add_co_ci_u32_e32 v8, vcc_lo, s7, v0, vcc_lo
	.p2align	6
.LBB3_13:                               ; =>This Inner Loop Header: Depth=1
	global_load_b64 v[9:10], v[5:6], off
	global_load_b64 v[11:12], v[3:4], off
	s_add_u32 s2, s2, -1
	s_addc_u32 s3, s3, -1
	v_add_co_u32 v3, vcc_lo, v3, -8
	v_cmp_gt_u64_e64 s0, s[2:3], 1
	v_add_co_ci_u32_e32 v4, vcc_lo, -1, v4, vcc_lo
	v_add_co_u32 v5, vcc_lo, v5, -8
	v_add_co_ci_u32_e32 v6, vcc_lo, -1, v6, vcc_lo
	s_delay_alu instid0(VALU_DEP_4) | instskip(SKIP_4) | instid1(VALU_DEP_1)
	s_and_b32 vcc_lo, exec_lo, s0
	s_waitcnt vmcnt(0)
	v_fma_f64 v[1:2], v[9:10], v[1:2], v[11:12]
	global_store_b64 v[7:8], v[1:2], off
	v_add_co_u32 v7, s0, v7, -8
	v_add_co_ci_u32_e64 v8, s0, -1, v8, s0
	s_cbranch_vccnz .LBB3_13
.LBB3_14:
	s_nop 0
	s_sendmsg sendmsg(MSG_DEALLOC_VGPRS)
	s_endpgm
	.section	.rodata,"a",@progbits
	.p2align	6, 0x0
	.amdhsa_kernel _ZN8rajaperf9polybench12poly_adi_lamILm256EZNS0_13POLYBENCH_ADI17runHipVariantImplILm256EEEvNS_9VariantIDEEUllE0_EEvlT0_
		.amdhsa_group_segment_fixed_size 0
		.amdhsa_private_segment_fixed_size 0
		.amdhsa_kernarg_size 88
		.amdhsa_user_sgpr_count 15
		.amdhsa_user_sgpr_dispatch_ptr 0
		.amdhsa_user_sgpr_queue_ptr 0
		.amdhsa_user_sgpr_kernarg_segment_ptr 1
		.amdhsa_user_sgpr_dispatch_id 0
		.amdhsa_user_sgpr_private_segment_size 0
		.amdhsa_wavefront_size32 1
		.amdhsa_uses_dynamic_stack 0
		.amdhsa_enable_private_segment 0
		.amdhsa_system_sgpr_workgroup_id_x 1
		.amdhsa_system_sgpr_workgroup_id_y 0
		.amdhsa_system_sgpr_workgroup_id_z 0
		.amdhsa_system_sgpr_workgroup_info 0
		.amdhsa_system_vgpr_workitem_id 0
		.amdhsa_next_free_vgpr 29
		.amdhsa_next_free_sgpr 32
		.amdhsa_reserve_vcc 1
		.amdhsa_float_round_mode_32 0
		.amdhsa_float_round_mode_16_64 0
		.amdhsa_float_denorm_mode_32 3
		.amdhsa_float_denorm_mode_16_64 3
		.amdhsa_dx10_clamp 1
		.amdhsa_ieee_mode 1
		.amdhsa_fp16_overflow 0
		.amdhsa_workgroup_processor_mode 1
		.amdhsa_memory_ordered 1
		.amdhsa_forward_progress 0
		.amdhsa_shared_vgpr_count 0
		.amdhsa_exception_fp_ieee_invalid_op 0
		.amdhsa_exception_fp_denorm_src 0
		.amdhsa_exception_fp_ieee_div_zero 0
		.amdhsa_exception_fp_ieee_overflow 0
		.amdhsa_exception_fp_ieee_underflow 0
		.amdhsa_exception_fp_ieee_inexact 0
		.amdhsa_exception_int_div_zero 0
	.end_amdhsa_kernel
	.section	.text._ZN8rajaperf9polybench12poly_adi_lamILm256EZNS0_13POLYBENCH_ADI17runHipVariantImplILm256EEEvNS_9VariantIDEEUllE0_EEvlT0_,"axG",@progbits,_ZN8rajaperf9polybench12poly_adi_lamILm256EZNS0_13POLYBENCH_ADI17runHipVariantImplILm256EEEvNS_9VariantIDEEUllE0_EEvlT0_,comdat
.Lfunc_end3:
	.size	_ZN8rajaperf9polybench12poly_adi_lamILm256EZNS0_13POLYBENCH_ADI17runHipVariantImplILm256EEEvNS_9VariantIDEEUllE0_EEvlT0_, .Lfunc_end3-_ZN8rajaperf9polybench12poly_adi_lamILm256EZNS0_13POLYBENCH_ADI17runHipVariantImplILm256EEEvNS_9VariantIDEEUllE0_EEvlT0_
                                        ; -- End function
	.section	.AMDGPU.csdata,"",@progbits
; Kernel info:
; codeLenInByte = 2124
; NumSgprs: 34
; NumVgprs: 29
; ScratchSize: 0
; MemoryBound: 0
; FloatMode: 240
; IeeeMode: 1
; LDSByteSize: 0 bytes/workgroup (compile time only)
; SGPRBlocks: 4
; VGPRBlocks: 3
; NumSGPRsForWavesPerEU: 34
; NumVGPRsForWavesPerEU: 29
; Occupancy: 16
; WaveLimiterHint : 0
; COMPUTE_PGM_RSRC2:SCRATCH_EN: 0
; COMPUTE_PGM_RSRC2:USER_SGPR: 15
; COMPUTE_PGM_RSRC2:TRAP_HANDLER: 0
; COMPUTE_PGM_RSRC2:TGID_X_EN: 1
; COMPUTE_PGM_RSRC2:TGID_Y_EN: 0
; COMPUTE_PGM_RSRC2:TGID_Z_EN: 0
; COMPUTE_PGM_RSRC2:TIDIG_COMP_CNT: 0
	.section	.text._ZN4RAJA8internal22HipKernelLauncherFixedILi256ENS0_8LoopDataIN4camp5tupleIJNS_4SpanINS_9Iterators16numeric_iteratorIllPlEElEESA_NS5_INS6_24strided_numeric_iteratorIllS8_EElEEEEENS4_IJEEENS3_9resources2v13HipEJZN8rajaperf9polybench13POLYBENCH_ADI17runHipVariantImplILm256EEEvNSJ_9VariantIDEEUllE1_ZNSM_ILm256EEEvSN_EUlllE_ZNSM_ILm256EEEvSN_EUllE2_ZNSM_ILm256EEEvSN_EUlllE0_EEENS0_24HipStatementListExecutorISS_NS3_4listIJNS_9statement3ForILl0ENS_6policy3hip11hip_indexerINS_17iteration_mapping6DirectELNS_23kernel_sync_requirementE0EJNS_3hip11IndexGlobalILNS_9named_dimE0ELi256ELi0EEEEEEJNSV_6LambdaILl0EJNSU_IJNS0_9LambdaArgINS0_16lambda_arg_seg_tELl0EEEEEEEEENSW_ILl1ENSX_10sequential8seq_execEJNS18_ILl1EJNSU_IJS1B_NS19_IS1A_Ll1EEEEEEEEEEEENS18_ILl2EJS1C_EEENSW_ILl2ES1F_JNS18_ILl3EJNSU_IJS1B_NS19_IS1A_Ll2EEEEEEEEEEEEEEEEEENS0_9LoopTypesINSU_IJvvvEEES1S_EEEEEEvT0_,"axG",@progbits,_ZN4RAJA8internal22HipKernelLauncherFixedILi256ENS0_8LoopDataIN4camp5tupleIJNS_4SpanINS_9Iterators16numeric_iteratorIllPlEElEESA_NS5_INS6_24strided_numeric_iteratorIllS8_EElEEEEENS4_IJEEENS3_9resources2v13HipEJZN8rajaperf9polybench13POLYBENCH_ADI17runHipVariantImplILm256EEEvNSJ_9VariantIDEEUllE1_ZNSM_ILm256EEEvSN_EUlllE_ZNSM_ILm256EEEvSN_EUllE2_ZNSM_ILm256EEEvSN_EUlllE0_EEENS0_24HipStatementListExecutorISS_NS3_4listIJNS_9statement3ForILl0ENS_6policy3hip11hip_indexerINS_17iteration_mapping6DirectELNS_23kernel_sync_requirementE0EJNS_3hip11IndexGlobalILNS_9named_dimE0ELi256ELi0EEEEEEJNSV_6LambdaILl0EJNSU_IJNS0_9LambdaArgINS0_16lambda_arg_seg_tELl0EEEEEEEEENSW_ILl1ENSX_10sequential8seq_execEJNS18_ILl1EJNSU_IJS1B_NS19_IS1A_Ll1EEEEEEEEEEEENS18_ILl2EJS1C_EEENSW_ILl2ES1F_JNS18_ILl3EJNSU_IJS1B_NS19_IS1A_Ll2EEEEEEEEEEEEEEEEEENS0_9LoopTypesINSU_IJvvvEEES1S_EEEEEEvT0_,comdat
	.protected	_ZN4RAJA8internal22HipKernelLauncherFixedILi256ENS0_8LoopDataIN4camp5tupleIJNS_4SpanINS_9Iterators16numeric_iteratorIllPlEElEESA_NS5_INS6_24strided_numeric_iteratorIllS8_EElEEEEENS4_IJEEENS3_9resources2v13HipEJZN8rajaperf9polybench13POLYBENCH_ADI17runHipVariantImplILm256EEEvNSJ_9VariantIDEEUllE1_ZNSM_ILm256EEEvSN_EUlllE_ZNSM_ILm256EEEvSN_EUllE2_ZNSM_ILm256EEEvSN_EUlllE0_EEENS0_24HipStatementListExecutorISS_NS3_4listIJNS_9statement3ForILl0ENS_6policy3hip11hip_indexerINS_17iteration_mapping6DirectELNS_23kernel_sync_requirementE0EJNS_3hip11IndexGlobalILNS_9named_dimE0ELi256ELi0EEEEEEJNSV_6LambdaILl0EJNSU_IJNS0_9LambdaArgINS0_16lambda_arg_seg_tELl0EEEEEEEEENSW_ILl1ENSX_10sequential8seq_execEJNS18_ILl1EJNSU_IJS1B_NS19_IS1A_Ll1EEEEEEEEEEEENS18_ILl2EJS1C_EEENSW_ILl2ES1F_JNS18_ILl3EJNSU_IJS1B_NS19_IS1A_Ll2EEEEEEEEEEEEEEEEEENS0_9LoopTypesINSU_IJvvvEEES1S_EEEEEEvT0_ ; -- Begin function _ZN4RAJA8internal22HipKernelLauncherFixedILi256ENS0_8LoopDataIN4camp5tupleIJNS_4SpanINS_9Iterators16numeric_iteratorIllPlEElEESA_NS5_INS6_24strided_numeric_iteratorIllS8_EElEEEEENS4_IJEEENS3_9resources2v13HipEJZN8rajaperf9polybench13POLYBENCH_ADI17runHipVariantImplILm256EEEvNSJ_9VariantIDEEUllE1_ZNSM_ILm256EEEvSN_EUlllE_ZNSM_ILm256EEEvSN_EUllE2_ZNSM_ILm256EEEvSN_EUlllE0_EEENS0_24HipStatementListExecutorISS_NS3_4listIJNS_9statement3ForILl0ENS_6policy3hip11hip_indexerINS_17iteration_mapping6DirectELNS_23kernel_sync_requirementE0EJNS_3hip11IndexGlobalILNS_9named_dimE0ELi256ELi0EEEEEEJNSV_6LambdaILl0EJNSU_IJNS0_9LambdaArgINS0_16lambda_arg_seg_tELl0EEEEEEEEENSW_ILl1ENSX_10sequential8seq_execEJNS18_ILl1EJNSU_IJS1B_NS19_IS1A_Ll1EEEEEEEEEEEENS18_ILl2EJS1C_EEENSW_ILl2ES1F_JNS18_ILl3EJNSU_IJS1B_NS19_IS1A_Ll2EEEEEEEEEEEEEEEEEENS0_9LoopTypesINSU_IJvvvEEES1S_EEEEEEvT0_
	.globl	_ZN4RAJA8internal22HipKernelLauncherFixedILi256ENS0_8LoopDataIN4camp5tupleIJNS_4SpanINS_9Iterators16numeric_iteratorIllPlEElEESA_NS5_INS6_24strided_numeric_iteratorIllS8_EElEEEEENS4_IJEEENS3_9resources2v13HipEJZN8rajaperf9polybench13POLYBENCH_ADI17runHipVariantImplILm256EEEvNSJ_9VariantIDEEUllE1_ZNSM_ILm256EEEvSN_EUlllE_ZNSM_ILm256EEEvSN_EUllE2_ZNSM_ILm256EEEvSN_EUlllE0_EEENS0_24HipStatementListExecutorISS_NS3_4listIJNS_9statement3ForILl0ENS_6policy3hip11hip_indexerINS_17iteration_mapping6DirectELNS_23kernel_sync_requirementE0EJNS_3hip11IndexGlobalILNS_9named_dimE0ELi256ELi0EEEEEEJNSV_6LambdaILl0EJNSU_IJNS0_9LambdaArgINS0_16lambda_arg_seg_tELl0EEEEEEEEENSW_ILl1ENSX_10sequential8seq_execEJNS18_ILl1EJNSU_IJS1B_NS19_IS1A_Ll1EEEEEEEEEEEENS18_ILl2EJS1C_EEENSW_ILl2ES1F_JNS18_ILl3EJNSU_IJS1B_NS19_IS1A_Ll2EEEEEEEEEEEEEEEEEENS0_9LoopTypesINSU_IJvvvEEES1S_EEEEEEvT0_
	.p2align	8
	.type	_ZN4RAJA8internal22HipKernelLauncherFixedILi256ENS0_8LoopDataIN4camp5tupleIJNS_4SpanINS_9Iterators16numeric_iteratorIllPlEElEESA_NS5_INS6_24strided_numeric_iteratorIllS8_EElEEEEENS4_IJEEENS3_9resources2v13HipEJZN8rajaperf9polybench13POLYBENCH_ADI17runHipVariantImplILm256EEEvNSJ_9VariantIDEEUllE1_ZNSM_ILm256EEEvSN_EUlllE_ZNSM_ILm256EEEvSN_EUllE2_ZNSM_ILm256EEEvSN_EUlllE0_EEENS0_24HipStatementListExecutorISS_NS3_4listIJNS_9statement3ForILl0ENS_6policy3hip11hip_indexerINS_17iteration_mapping6DirectELNS_23kernel_sync_requirementE0EJNS_3hip11IndexGlobalILNS_9named_dimE0ELi256ELi0EEEEEEJNSV_6LambdaILl0EJNSU_IJNS0_9LambdaArgINS0_16lambda_arg_seg_tELl0EEEEEEEEENSW_ILl1ENSX_10sequential8seq_execEJNS18_ILl1EJNSU_IJS1B_NS19_IS1A_Ll1EEEEEEEEEEEENS18_ILl2EJS1C_EEENSW_ILl2ES1F_JNS18_ILl3EJNSU_IJS1B_NS19_IS1A_Ll2EEEEEEEEEEEEEEEEEENS0_9LoopTypesINSU_IJvvvEEES1S_EEEEEEvT0_,@function
_ZN4RAJA8internal22HipKernelLauncherFixedILi256ENS0_8LoopDataIN4camp5tupleIJNS_4SpanINS_9Iterators16numeric_iteratorIllPlEElEESA_NS5_INS6_24strided_numeric_iteratorIllS8_EElEEEEENS4_IJEEENS3_9resources2v13HipEJZN8rajaperf9polybench13POLYBENCH_ADI17runHipVariantImplILm256EEEvNSJ_9VariantIDEEUllE1_ZNSM_ILm256EEEvSN_EUlllE_ZNSM_ILm256EEEvSN_EUllE2_ZNSM_ILm256EEEvSN_EUlllE0_EEENS0_24HipStatementListExecutorISS_NS3_4listIJNS_9statement3ForILl0ENS_6policy3hip11hip_indexerINS_17iteration_mapping6DirectELNS_23kernel_sync_requirementE0EJNS_3hip11IndexGlobalILNS_9named_dimE0ELi256ELi0EEEEEEJNSV_6LambdaILl0EJNSU_IJNS0_9LambdaArgINS0_16lambda_arg_seg_tELl0EEEEEEEEENSW_ILl1ENSX_10sequential8seq_execEJNS18_ILl1EJNSU_IJS1B_NS19_IS1A_Ll1EEEEEEEEEEEENS18_ILl2EJS1C_EEENSW_ILl2ES1F_JNS18_ILl3EJNSU_IJS1B_NS19_IS1A_Ll2EEEEEEEEEEEEEEEEEENS0_9LoopTypesINSU_IJvvvEEES1S_EEEEEEvT0_: ; @_ZN4RAJA8internal22HipKernelLauncherFixedILi256ENS0_8LoopDataIN4camp5tupleIJNS_4SpanINS_9Iterators16numeric_iteratorIllPlEElEESA_NS5_INS6_24strided_numeric_iteratorIllS8_EElEEEEENS4_IJEEENS3_9resources2v13HipEJZN8rajaperf9polybench13POLYBENCH_ADI17runHipVariantImplILm256EEEvNSJ_9VariantIDEEUllE1_ZNSM_ILm256EEEvSN_EUlllE_ZNSM_ILm256EEEvSN_EUllE2_ZNSM_ILm256EEEvSN_EUlllE0_EEENS0_24HipStatementListExecutorISS_NS3_4listIJNS_9statement3ForILl0ENS_6policy3hip11hip_indexerINS_17iteration_mapping6DirectELNS_23kernel_sync_requirementE0EJNS_3hip11IndexGlobalILNS_9named_dimE0ELi256ELi0EEEEEEJNSV_6LambdaILl0EJNSU_IJNS0_9LambdaArgINS0_16lambda_arg_seg_tELl0EEEEEEEEENSW_ILl1ENSX_10sequential8seq_execEJNS18_ILl1EJNSU_IJS1B_NS19_IS1A_Ll1EEEEEEEEEEEENS18_ILl2EJS1C_EEENSW_ILl2ES1F_JNS18_ILl3EJNSU_IJS1B_NS19_IS1A_Ll2EEEEEEEEEEEEEEEEEENS0_9LoopTypesINSU_IJvvvEEES1S_EEEEEEvT0_
; %bb.0:
	s_mov_b32 s2, s15
	s_load_b512 s[4:19], s[0:1], 0x0
	s_mov_b32 s3, 0
	s_waitcnt lgkmcnt(0)
	s_sub_u32 s6, s6, s4
	s_subb_u32 s7, s7, s5
	s_lshl_b64 s[2:3], s[2:3], 8
	s_delay_alu instid0(SALU_CYCLE_1) | instskip(SKIP_1) | instid1(VALU_DEP_1)
	v_or_b32_e32 v0, s2, v0
	v_mov_b32_e32 v1, s3
	v_cmp_gt_i64_e64 s2, s[6:7], v[0:1]
	s_delay_alu instid0(VALU_DEP_1)
	s_and_saveexec_b32 s3, s2
	s_cbranch_execz .LBB4_2
; %bb.1:
	s_clause 0x1
	s_load_b64 s[6:7], s[0:1], 0xb8
	s_load_b64 s[20:21], s[0:1], 0x58
	v_add_co_u32 v2, vcc_lo, s4, v0
	v_add_co_ci_u32_e32 v3, vcc_lo, s5, v1, vcc_lo
	s_load_b64 s[22:23], s[0:1], 0xa0
	v_dual_mov_b32 v8, 0 :: v_dual_mov_b32 v9, 0x3ff00000
	s_delay_alu instid0(VALU_DEP_2) | instskip(SKIP_4) | instid1(VALU_DEP_4)
	v_lshlrev_b64 v[6:7], 3, v[2:3]
	s_waitcnt lgkmcnt(0)
	v_mul_lo_u32 v10, s7, v2
	v_mul_lo_u32 v11, s6, v3
	v_mad_u64_u32 v[4:5], null, s6, v2, 0
	v_add_co_u32 v6, vcc_lo, s20, v6
	v_add_co_ci_u32_e32 v7, vcc_lo, s21, v7, vcc_lo
	s_delay_alu instid0(VALU_DEP_3) | instskip(SKIP_3) | instid1(VALU_DEP_1)
	v_add3_u32 v5, v5, v11, v10
	global_store_b64 v[6:7], v[8:9], off
	v_mov_b32_e32 v9, v8
	v_lshlrev_b64 v[4:5], 3, v[4:5]
	v_add_co_u32 v4, vcc_lo, s22, v4
	s_delay_alu instid0(VALU_DEP_2)
	v_add_co_ci_u32_e32 v5, vcc_lo, s23, v5, vcc_lo
	global_store_b64 v[4:5], v[8:9], off
	global_load_b64 v[4:5], v[6:7], off
	s_clause 0x1
	s_load_b64 s[6:7], s[0:1], 0x100
	s_load_b64 s[20:21], s[0:1], 0xe8
	s_waitcnt lgkmcnt(0)
	v_mul_lo_u32 v8, s7, v2
	v_mul_lo_u32 v3, s6, v3
	v_mad_u64_u32 v[6:7], null, s6, v2, 0
	s_delay_alu instid0(VALU_DEP_1) | instskip(NEXT) | instid1(VALU_DEP_1)
	v_add3_u32 v7, v7, v3, v8
	v_lshlrev_b64 v[2:3], 3, v[6:7]
	s_delay_alu instid0(VALU_DEP_1) | instskip(NEXT) | instid1(VALU_DEP_2)
	v_add_co_u32 v2, vcc_lo, s20, v2
	v_add_co_ci_u32_e32 v3, vcc_lo, s21, v3, vcc_lo
	s_waitcnt vmcnt(0)
	global_store_b64 v[2:3], v[4:5], off
.LBB4_2:
	s_or_b32 exec_lo, exec_lo, s3
	s_load_b128 s[28:31], s[0:1], 0x228
	s_sub_u32 s6, s10, s8
	s_subb_u32 s7, s11, s9
	s_delay_alu instid0(SALU_CYCLE_1) | instskip(NEXT) | instid1(VALU_DEP_1)
	v_cmp_lt_i64_e64 s3, s[6:7], 1
	s_and_b32 vcc_lo, exec_lo, s3
	s_cbranch_vccnz .LBB4_7
; %bb.3:
	s_clause 0x4
	s_load_b128 s[36:39], s[0:1], 0x1d8
	s_load_b64 s[10:11], s[0:1], 0x1a8
	s_load_b256 s[20:27], s[0:1], 0x178
	s_load_b64 s[34:35], s[0:1], 0x1f8
	s_load_b64 s[40:41], s[0:1], 0x148
	v_add_co_u32 v4, vcc_lo, s4, v0
	v_add_co_ci_u32_e32 v5, vcc_lo, s5, v1, vcc_lo
	s_load_b64 s[42:43], s[0:1], 0x130
	s_lshl_b64 s[44:45], s[8:9], 3
	s_waitcnt lgkmcnt(0)
	v_fma_f64 v[2:3], s[36:37], 2.0, 1.0
	v_mul_lo_u32 v10, s11, v4
	v_mul_lo_u32 v11, s10, v5
	v_mad_u64_u32 v[6:7], null, s10, v4, 0
	v_mul_lo_u32 v12, s41, v4
	v_mul_lo_u32 v13, s40, v5
	v_mad_u64_u32 v[8:9], null, s40, v4, 0
	s_mul_i32 s10, s8, s35
	s_mul_hi_u32 s11, s8, s34
	s_delay_alu instid0(VALU_DEP_4) | instskip(SKIP_3) | instid1(VALU_DEP_3)
	v_add3_u32 v7, v7, v11, v10
	v_lshlrev_b64 v[10:11], 3, v[4:5]
	s_add_u32 s3, s26, s44
	s_mul_i32 s9, s9, s34
	v_add3_u32 v9, v9, v13, v12
	v_lshlrev_b64 v[4:5], 3, v[6:7]
	s_addc_u32 s26, s27, s45
	s_add_i32 s10, s11, s10
	s_mul_i32 s8, s8, s34
	s_add_i32 s9, s10, s9
	v_lshlrev_b64 v[6:7], 3, v[8:9]
	v_add_co_u32 v4, vcc_lo, s3, v4
	s_lshl_b64 s[8:9], s[8:9], 3
	v_add_co_ci_u32_e32 v5, vcc_lo, s26, v5, vcc_lo
	s_add_u32 s10, s38, s8
	s_addc_u32 s11, s39, s9
	s_lshl_b64 s[8:9], s[34:35], 3
	v_add_co_u32 v4, vcc_lo, v4, -8
	s_add_u32 s3, s42, s44
	v_add_co_ci_u32_e32 v5, vcc_lo, -1, v5, vcc_lo
	s_addc_u32 s26, s43, s45
	v_add_co_u32 v8, vcc_lo, s3, v6
	v_add_co_ci_u32_e32 v9, vcc_lo, s26, v7, vcc_lo
	v_add_co_u32 v6, vcc_lo, s10, v10
	v_add_co_ci_u32_e32 v7, vcc_lo, s11, v11, vcc_lo
	s_delay_alu instid0(VALU_DEP_4) | instskip(NEXT) | instid1(VALU_DEP_4)
	v_add_co_u32 v8, vcc_lo, v8, -8
	v_add_co_ci_u32_e32 v9, vcc_lo, -1, v9, vcc_lo
	s_mov_b64 s[10:11], 0
	s_branch .LBB4_5
.LBB4_4:                                ;   in Loop: Header=BB4_5 Depth=1
	s_or_b32 exec_lo, exec_lo, s3
	v_add_co_u32 v4, vcc_lo, v4, 8
	s_add_u32 s10, s10, 1
	v_add_co_ci_u32_e32 v5, vcc_lo, 0, v5, vcc_lo
	s_addc_u32 s11, s11, 0
	v_add_co_u32 v6, vcc_lo, v6, s8
	v_cmp_lt_i64_e64 s3, s[10:11], s[6:7]
	v_add_co_ci_u32_e32 v7, vcc_lo, s9, v7, vcc_lo
	v_add_co_u32 v8, vcc_lo, v8, 8
	v_add_co_ci_u32_e32 v9, vcc_lo, 0, v9, vcc_lo
	s_delay_alu instid0(VALU_DEP_4)
	s_and_b32 vcc_lo, exec_lo, s3
	s_cbranch_vccz .LBB4_7
.LBB4_5:                                ; =>This Inner Loop Header: Depth=1
	s_and_saveexec_b32 s3, s2
	s_cbranch_execz .LBB4_4
; %bb.6:                                ;   in Loop: Header=BB4_5 Depth=1
	global_load_b64 v[10:11], v[8:9], off
	s_waitcnt vmcnt(0)
	v_fma_f64 v[14:15], s[22:23], v[10:11], s[24:25]
	s_delay_alu instid0(VALU_DEP_1) | instskip(SKIP_1) | instid1(VALU_DEP_2)
	v_div_scale_f64 v[10:11], null, v[14:15], v[14:15], -s[20:21]
	v_div_scale_f64 v[18:19], vcc_lo, -s[20:21], v[14:15], -s[20:21]
	v_rcp_f64_e32 v[12:13], v[10:11]
	s_waitcnt_depctr 0xfff
	v_fma_f64 v[16:17], -v[10:11], v[12:13], 1.0
	s_delay_alu instid0(VALU_DEP_1) | instskip(NEXT) | instid1(VALU_DEP_1)
	v_fma_f64 v[12:13], v[12:13], v[16:17], v[12:13]
	v_fma_f64 v[16:17], -v[10:11], v[12:13], 1.0
	s_delay_alu instid0(VALU_DEP_1) | instskip(NEXT) | instid1(VALU_DEP_1)
	v_fma_f64 v[12:13], v[12:13], v[16:17], v[12:13]
	v_mul_f64 v[16:17], v[18:19], v[12:13]
	s_delay_alu instid0(VALU_DEP_1) | instskip(NEXT) | instid1(VALU_DEP_1)
	v_fma_f64 v[10:11], -v[10:11], v[16:17], v[18:19]
	v_div_fmas_f64 v[10:11], v[10:11], v[12:13], v[16:17]
	s_delay_alu instid0(VALU_DEP_1)
	v_div_fixup_f64 v[10:11], v[10:11], v[14:15], -s[20:21]
	global_store_b64 v[8:9], v[10:11], off offset:8
	s_clause 0x1
	global_load_b128 v[10:13], v[6:7], off offset:-8
	global_load_b64 v[16:17], v[6:7], off offset:8
	global_load_b64 v[18:19], v[4:5], off
	s_waitcnt vmcnt(2)
	v_mul_f64 v[10:11], s[36:37], v[10:11]
	s_delay_alu instid0(VALU_DEP_1) | instskip(SKIP_1) | instid1(VALU_DEP_1)
	v_fma_f64 v[10:11], v[2:3], v[12:13], -v[10:11]
	s_waitcnt vmcnt(1)
	v_fma_f64 v[10:11], -s[28:29], v[16:17], v[10:11]
	s_waitcnt vmcnt(0)
	s_delay_alu instid0(VALU_DEP_1) | instskip(NEXT) | instid1(VALU_DEP_1)
	v_fma_f64 v[10:11], -s[22:23], v[18:19], v[10:11]
	v_div_scale_f64 v[12:13], null, v[14:15], v[14:15], v[10:11]
	s_delay_alu instid0(VALU_DEP_1) | instskip(SKIP_2) | instid1(VALU_DEP_1)
	v_rcp_f64_e32 v[16:17], v[12:13]
	s_waitcnt_depctr 0xfff
	v_fma_f64 v[18:19], -v[12:13], v[16:17], 1.0
	v_fma_f64 v[16:17], v[16:17], v[18:19], v[16:17]
	s_delay_alu instid0(VALU_DEP_1) | instskip(NEXT) | instid1(VALU_DEP_1)
	v_fma_f64 v[18:19], -v[12:13], v[16:17], 1.0
	v_fma_f64 v[16:17], v[16:17], v[18:19], v[16:17]
	v_div_scale_f64 v[18:19], vcc_lo, v[10:11], v[14:15], v[10:11]
	s_delay_alu instid0(VALU_DEP_1) | instskip(NEXT) | instid1(VALU_DEP_1)
	v_mul_f64 v[20:21], v[18:19], v[16:17]
	v_fma_f64 v[12:13], -v[12:13], v[20:21], v[18:19]
	s_delay_alu instid0(VALU_DEP_1) | instskip(NEXT) | instid1(VALU_DEP_1)
	v_div_fmas_f64 v[12:13], v[12:13], v[16:17], v[20:21]
	v_div_fixup_f64 v[10:11], v[12:13], v[14:15], v[10:11]
	global_store_b64 v[4:5], v[10:11], off offset:8
	s_branch .LBB4_4
.LBB4_7:
	s_load_b128 s[8:11], s[0:1], 0x278
	s_and_saveexec_b32 s3, s2
	s_cbranch_execz .LBB4_9
; %bb.8:
	s_load_b64 s[6:7], s[0:1], 0x248
	s_waitcnt lgkmcnt(0)
	s_add_u32 s8, s8, -1
	s_addc_u32 s9, s9, -1
	v_lshlrev_b64 v[2:3], 3, v[0:1]
	v_dual_mov_b32 v4, 0 :: v_dual_mov_b32 v5, 0x3ff00000
	s_mul_i32 s7, s8, s7
	s_mul_hi_u32 s20, s8, s6
	s_mul_i32 s9, s9, s6
	s_add_i32 s7, s20, s7
	s_mul_i32 s6, s8, s6
	s_add_i32 s7, s7, s9
	s_delay_alu instid0(SALU_CYCLE_1) | instskip(NEXT) | instid1(SALU_CYCLE_1)
	s_lshl_b64 s[6:7], s[6:7], 3
	s_add_u32 s8, s30, s6
	s_addc_u32 s9, s31, s7
	s_lshl_b64 s[6:7], s[4:5], 3
	s_delay_alu instid0(SALU_CYCLE_1)
	s_add_u32 s6, s6, s8
	s_addc_u32 s7, s7, s9
	v_add_co_u32 v2, vcc_lo, s6, v2
	v_add_co_ci_u32_e32 v3, vcc_lo, s7, v3, vcc_lo
	global_store_b64 v[2:3], v[4:5], off
.LBB4_9:
	s_or_b32 exec_lo, exec_lo, s3
	s_sub_u32 s6, s16, s12
	s_subb_u32 s7, s17, s13
	s_waitcnt lgkmcnt(0)
	s_or_b64 s[8:9], s[6:7], s[18:19]
	s_mov_b32 s8, 0
	s_delay_alu instid0(SALU_CYCLE_1)
	s_cmp_lg_u64 s[8:9], 0
	s_cbranch_scc0 .LBB4_18
; %bb.10:
	s_ashr_i32 s16, s19, 31
	s_delay_alu instid0(SALU_CYCLE_1) | instskip(SKIP_2) | instid1(SALU_CYCLE_1)
	s_add_u32 s20, s18, s16
	s_mov_b32 s17, s16
	s_addc_u32 s21, s19, s16
	s_xor_b64 s[20:21], s[20:21], s[16:17]
	s_delay_alu instid0(SALU_CYCLE_1) | instskip(SKIP_3) | instid1(VALU_DEP_1)
	v_cvt_f32_u32_e32 v2, s20
	v_cvt_f32_u32_e32 v3, s21
	s_sub_u32 s22, 0, s20
	s_subb_u32 s23, 0, s21
	v_fmamk_f32 v2, v3, 0x4f800000, v2
	s_delay_alu instid0(VALU_DEP_1) | instskip(SKIP_2) | instid1(VALU_DEP_1)
	v_rcp_f32_e32 v2, v2
	s_waitcnt_depctr 0xfff
	v_mul_f32_e32 v2, 0x5f7ffffc, v2
	v_mul_f32_e32 v3, 0x2f800000, v2
	s_delay_alu instid0(VALU_DEP_1) | instskip(NEXT) | instid1(VALU_DEP_1)
	v_trunc_f32_e32 v3, v3
	v_fmamk_f32 v2, v3, 0xcf800000, v2
	v_cvt_u32_f32_e32 v3, v3
	s_delay_alu instid0(VALU_DEP_2) | instskip(NEXT) | instid1(VALU_DEP_2)
	v_cvt_u32_f32_e32 v2, v2
	v_readfirstlane_b32 s3, v3
	s_delay_alu instid0(VALU_DEP_2) | instskip(NEXT) | instid1(VALU_DEP_2)
	v_readfirstlane_b32 s9, v2
	s_mul_i32 s24, s22, s3
	s_delay_alu instid0(VALU_DEP_1)
	s_mul_hi_u32 s26, s22, s9
	s_mul_i32 s25, s23, s9
	s_add_i32 s24, s26, s24
	s_mul_i32 s27, s22, s9
	s_add_i32 s24, s24, s25
	s_mul_hi_u32 s26, s9, s27
	s_mul_hi_u32 s28, s3, s27
	s_mul_i32 s25, s3, s27
	s_mul_hi_u32 s27, s9, s24
	s_mul_i32 s9, s9, s24
	s_mul_hi_u32 s29, s3, s24
	s_add_u32 s9, s26, s9
	s_addc_u32 s26, 0, s27
	s_add_u32 s9, s9, s25
	s_mul_i32 s24, s3, s24
	s_addc_u32 s9, s26, s28
	s_addc_u32 s25, s29, 0
	s_add_u32 s9, s9, s24
	s_addc_u32 s24, 0, s25
	v_add_co_u32 v2, s9, v2, s9
	s_delay_alu instid0(VALU_DEP_1) | instskip(SKIP_1) | instid1(VALU_DEP_1)
	s_cmp_lg_u32 s9, 0
	s_addc_u32 s3, s3, s24
	v_readfirstlane_b32 s9, v2
	s_mul_i32 s24, s22, s3
	s_delay_alu instid0(VALU_DEP_1)
	s_mul_hi_u32 s25, s22, s9
	s_mul_i32 s23, s23, s9
	s_add_i32 s24, s25, s24
	s_mul_i32 s22, s22, s9
	s_add_i32 s24, s24, s23
	s_mul_hi_u32 s25, s3, s22
	s_mul_i32 s26, s3, s22
	s_mul_hi_u32 s22, s9, s22
	s_mul_hi_u32 s27, s9, s24
	s_mul_i32 s9, s9, s24
	s_mul_hi_u32 s23, s3, s24
	s_add_u32 s9, s22, s9
	s_addc_u32 s22, 0, s27
	s_add_u32 s9, s9, s26
	s_mul_i32 s24, s3, s24
	s_addc_u32 s9, s22, s25
	s_addc_u32 s22, s23, 0
	s_add_u32 s9, s9, s24
	s_addc_u32 s22, 0, s22
	v_add_co_u32 v2, s9, v2, s9
	s_delay_alu instid0(VALU_DEP_1) | instskip(SKIP_2) | instid1(VALU_DEP_1)
	s_cmp_lg_u32 s9, 0
	s_addc_u32 s3, s3, s22
	s_ashr_i32 s22, s7, 31
	v_readfirstlane_b32 s9, v2
	s_add_u32 s24, s6, s22
	s_mov_b32 s23, s22
	s_addc_u32 s25, s7, s22
	s_delay_alu instid0(SALU_CYCLE_1) | instskip(NEXT) | instid1(SALU_CYCLE_1)
	s_xor_b64 s[24:25], s[24:25], s[22:23]
	s_mul_i32 s27, s24, s3
	s_mul_hi_u32 s28, s24, s9
	s_mul_hi_u32 s26, s24, s3
	s_mul_hi_u32 s30, s25, s9
	s_mul_i32 s9, s25, s9
	s_add_u32 s27, s28, s27
	s_addc_u32 s26, 0, s26
	s_mul_hi_u32 s29, s25, s3
	s_add_u32 s9, s27, s9
	s_mul_i32 s3, s25, s3
	s_addc_u32 s9, s26, s30
	s_addc_u32 s26, s29, 0
	s_add_u32 s3, s9, s3
	s_addc_u32 s9, 0, s26
	s_mul_i32 s29, s20, s3
	s_mul_hi_u32 s26, s20, s3
	s_mul_i32 s28, s20, s9
	v_sub_co_u32 v2, s24, s24, s29
	s_mul_i32 s27, s21, s3
	s_add_i32 s26, s26, s28
	s_delay_alu instid0(SALU_CYCLE_1) | instskip(NEXT) | instid1(VALU_DEP_1)
	s_add_i32 s26, s26, s27
	v_sub_co_u32 v3, s28, v2, s20
	s_sub_i32 s27, s25, s26
	s_cmp_lg_u32 s24, 0
	s_subb_u32 s27, s27, s21
	s_cmp_lg_u32 s28, 0
	v_readfirstlane_b32 s28, v3
	s_subb_u32 s27, s27, 0
	s_delay_alu instid0(SALU_CYCLE_1) | instskip(SKIP_1) | instid1(VALU_DEP_1)
	s_cmp_ge_u32 s27, s21
	s_cselect_b32 s29, -1, 0
	s_cmp_ge_u32 s28, s20
	s_cselect_b32 s28, -1, 0
	s_cmp_eq_u32 s27, s21
	s_cselect_b32 s27, s28, s29
	s_add_u32 s28, s3, 1
	s_addc_u32 s29, s9, 0
	s_add_u32 s30, s3, 2
	s_addc_u32 s31, s9, 0
	s_cmp_lg_u32 s27, 0
	s_cselect_b32 s27, s30, s28
	s_cselect_b32 s28, s31, s29
	s_cmp_lg_u32 s24, 0
	v_readfirstlane_b32 s24, v2
	s_subb_u32 s25, s25, s26
	s_delay_alu instid0(SALU_CYCLE_1) | instskip(SKIP_1) | instid1(VALU_DEP_1)
	s_cmp_ge_u32 s25, s21
	s_cselect_b32 s26, -1, 0
	s_cmp_ge_u32 s24, s20
	s_cselect_b32 s20, -1, 0
	s_cmp_eq_u32 s25, s21
	s_cselect_b32 s20, s20, s26
	s_delay_alu instid0(SALU_CYCLE_1) | instskip(SKIP_3) | instid1(SALU_CYCLE_1)
	s_cmp_lg_u32 s20, 0
	s_cselect_b32 s21, s28, s9
	s_cselect_b32 s20, s27, s3
	s_xor_b64 s[16:17], s[22:23], s[16:17]
	s_xor_b64 s[20:21], s[20:21], s[16:17]
	s_delay_alu instid0(SALU_CYCLE_1)
	s_sub_u32 s16, s20, s16
	s_subb_u32 s17, s21, s17
	s_and_not1_b32 vcc_lo, exec_lo, s8
	s_cbranch_vccnz .LBB4_12
.LBB4_11:
	v_cvt_f32_u32_e32 v2, s18
	s_sub_i32 s8, 0, s18
	s_mov_b32 s17, 0
	s_delay_alu instid0(VALU_DEP_1) | instskip(SKIP_2) | instid1(VALU_DEP_1)
	v_rcp_iflag_f32_e32 v2, v2
	s_waitcnt_depctr 0xfff
	v_mul_f32_e32 v2, 0x4f7ffffe, v2
	v_cvt_u32_f32_e32 v2, v2
	s_delay_alu instid0(VALU_DEP_1) | instskip(NEXT) | instid1(VALU_DEP_1)
	v_readfirstlane_b32 s3, v2
	s_mul_i32 s8, s8, s3
	s_delay_alu instid0(SALU_CYCLE_1) | instskip(NEXT) | instid1(SALU_CYCLE_1)
	s_mul_hi_u32 s8, s3, s8
	s_add_i32 s3, s3, s8
	s_delay_alu instid0(SALU_CYCLE_1) | instskip(NEXT) | instid1(SALU_CYCLE_1)
	s_mul_hi_u32 s3, s6, s3
	s_mul_i32 s8, s3, s18
	s_add_i32 s9, s3, 1
	s_sub_i32 s8, s6, s8
	s_delay_alu instid0(SALU_CYCLE_1)
	s_sub_i32 s16, s8, s18
	s_cmp_ge_u32 s8, s18
	s_cselect_b32 s3, s9, s3
	s_cselect_b32 s8, s16, s8
	s_add_i32 s9, s3, 1
	s_cmp_ge_u32 s8, s18
	s_cselect_b32 s16, s9, s3
.LBB4_12:
	s_delay_alu instid0(SALU_CYCLE_1) | instskip(SKIP_4) | instid1(SALU_CYCLE_1)
	s_mul_i32 s3, s16, s19
	s_mul_hi_u32 s8, s16, s18
	s_mul_i32 s9, s16, s18
	s_add_i32 s3, s8, s3
	s_mul_i32 s8, s17, s18
	s_add_i32 s3, s3, s8
	s_sub_u32 s6, s6, s9
	s_subb_u32 s7, s7, s3
	s_delay_alu instid0(SALU_CYCLE_1) | instskip(SKIP_1) | instid1(SALU_CYCLE_1)
	s_cmp_lg_u64 s[6:7], 0
	s_cselect_b32 s3, -1, 0
	v_cndmask_b32_e64 v2, 0, 1, s3
	s_delay_alu instid0(VALU_DEP_1) | instskip(NEXT) | instid1(VALU_DEP_1)
	v_add_co_u32 v2, s3, s16, v2
	v_add_co_ci_u32_e64 v3, null, s17, 0, s3
	s_delay_alu instid0(VALU_DEP_1)
	v_cmp_gt_i64_e32 vcc_lo, 1, v[2:3]
	s_cbranch_vccnz .LBB4_17
; %bb.13:
	s_clause 0x2
	s_load_b64 s[8:9], s[0:1], 0x2e0
	s_load_b64 s[16:17], s[0:1], 0x328
	;; [unrolled: 1-line block ×3, first 2 shown]
	v_add_co_u32 v0, vcc_lo, s4, v0
	v_add_co_ci_u32_e32 v1, vcc_lo, s5, v1, vcc_lo
	s_clause 0x1
	s_load_b64 s[20:21], s[0:1], 0x2c8
	s_load_b64 s[0:1], s[0:1], 0x310
	s_lshl_b64 s[6:7], s[14:15], 3
	s_lshl_b64 s[4:5], s[12:13], 3
	v_lshlrev_b64 v[4:5], 3, v[0:1]
	s_waitcnt lgkmcnt(0)
	v_mul_lo_u32 v10, s9, v0
	v_mul_lo_u32 v11, s8, v1
	v_mad_u64_u32 v[6:7], null, s8, v0, 0
	v_mul_lo_u32 v12, s17, v0
	v_mul_lo_u32 v13, s16, v1
	v_mad_u64_u32 v[8:9], null, s16, v0, 0
	s_mul_i32 s3, s12, s19
	s_mul_hi_u32 s9, s12, s18
	s_delay_alu instid0(VALU_DEP_4) | instskip(SKIP_3) | instid1(VALU_DEP_2)
	v_add3_u32 v7, v7, v11, v10
	s_mul_i32 s17, s14, s19
	s_mul_hi_u32 s22, s14, s18
	s_mul_i32 s16, s13, s18
	v_add3_u32 v9, v9, v13, v12
	v_lshlrev_b64 v[0:1], 3, v[6:7]
	s_mul_i32 s15, s15, s18
	s_add_i32 s3, s9, s3
	s_add_i32 s17, s22, s17
	s_mul_i32 s8, s12, s18
	s_mul_i32 s14, s14, s18
	s_add_i32 s9, s3, s16
	s_add_i32 s15, s17, s15
	v_add_co_u32 v0, vcc_lo, s20, v0
	v_lshlrev_b64 v[6:7], 3, v[8:9]
	s_lshl_b64 s[8:9], s[8:9], 3
	s_lshl_b64 s[14:15], s[14:15], 3
	v_add_co_ci_u32_e32 v1, vcc_lo, s21, v1, vcc_lo
	s_add_u32 s3, s12, 1
	s_addc_u32 s12, s13, 0
	v_add_co_u32 v4, vcc_lo, s10, v4
	s_mul_i32 s12, s18, s12
	s_mul_hi_u32 s13, s18, s3
	v_add_co_ci_u32_e32 v5, vcc_lo, s11, v5, vcc_lo
	v_add_co_u32 v6, vcc_lo, s0, v6
	s_add_i32 s10, s13, s12
	s_mul_i32 s11, s19, s3
	v_add_co_ci_u32_e32 v7, vcc_lo, s1, v7, vcc_lo
	s_add_i32 s1, s10, s11
	s_mul_i32 s0, s18, s3
	s_delay_alu instid0(SALU_CYCLE_1)
	s_lshl_b64 s[10:11], s[0:1], 3
	s_set_inst_prefetch_distance 0x1
	s_branch .LBB4_15
	.p2align	6
.LBB4_14:                               ;   in Loop: Header=BB4_15 Depth=1
	s_or_b32 exec_lo, exec_lo, s0
	v_add_co_u32 v2, vcc_lo, v2, -1
	v_add_co_ci_u32_e32 v3, vcc_lo, -1, v3, vcc_lo
	v_add_co_u32 v4, s0, v4, s14
	s_delay_alu instid0(VALU_DEP_1) | instskip(NEXT) | instid1(VALU_DEP_3)
	v_add_co_ci_u32_e64 v5, s0, s15, v5, s0
	v_cmp_ne_u64_e32 vcc_lo, 0, v[2:3]
	s_add_u32 s4, s4, s6
	s_addc_u32 s5, s5, s7
	s_cbranch_vccz .LBB4_17
.LBB4_15:                               ; =>This Inner Loop Header: Depth=1
	s_and_saveexec_b32 s0, s2
	s_cbranch_execz .LBB4_14
; %bb.16:                               ;   in Loop: Header=BB4_15 Depth=1
	v_add_co_u32 v8, vcc_lo, v0, s4
	v_add_co_ci_u32_e32 v9, vcc_lo, s5, v1, vcc_lo
	v_add_co_u32 v10, vcc_lo, v4, s10
	v_add_co_ci_u32_e32 v11, vcc_lo, s11, v5, vcc_lo
	;; [unrolled: 2-line block ×3, first 2 shown]
	global_load_b64 v[8:9], v[8:9], off
	global_load_b64 v[10:11], v[10:11], off
	;; [unrolled: 1-line block ×3, first 2 shown]
	s_waitcnt vmcnt(0)
	v_fma_f64 v[8:9], v[8:9], v[10:11], v[12:13]
	v_add_co_u32 v10, vcc_lo, v4, s8
	v_add_co_ci_u32_e32 v11, vcc_lo, s9, v5, vcc_lo
	global_store_b64 v[10:11], v[8:9], off
	s_branch .LBB4_14
.LBB4_17:
	s_set_inst_prefetch_distance 0x2
	s_nop 0
	s_sendmsg sendmsg(MSG_DEALLOC_VGPRS)
	s_endpgm
.LBB4_18:
                                        ; implicit-def: $sgpr16_sgpr17
	s_branch .LBB4_11
	.section	.rodata,"a",@progbits
	.p2align	6, 0x0
	.amdhsa_kernel _ZN4RAJA8internal22HipKernelLauncherFixedILi256ENS0_8LoopDataIN4camp5tupleIJNS_4SpanINS_9Iterators16numeric_iteratorIllPlEElEESA_NS5_INS6_24strided_numeric_iteratorIllS8_EElEEEEENS4_IJEEENS3_9resources2v13HipEJZN8rajaperf9polybench13POLYBENCH_ADI17runHipVariantImplILm256EEEvNSJ_9VariantIDEEUllE1_ZNSM_ILm256EEEvSN_EUlllE_ZNSM_ILm256EEEvSN_EUllE2_ZNSM_ILm256EEEvSN_EUlllE0_EEENS0_24HipStatementListExecutorISS_NS3_4listIJNS_9statement3ForILl0ENS_6policy3hip11hip_indexerINS_17iteration_mapping6DirectELNS_23kernel_sync_requirementE0EJNS_3hip11IndexGlobalILNS_9named_dimE0ELi256ELi0EEEEEEJNSV_6LambdaILl0EJNSU_IJNS0_9LambdaArgINS0_16lambda_arg_seg_tELl0EEEEEEEEENSW_ILl1ENSX_10sequential8seq_execEJNS18_ILl1EJNSU_IJS1B_NS19_IS1A_Ll1EEEEEEEEEEEENS18_ILl2EJS1C_EEENSW_ILl2ES1F_JNS18_ILl3EJNSU_IJS1B_NS19_IS1A_Ll2EEEEEEEEEEEEEEEEEENS0_9LoopTypesINSU_IJvvvEEES1S_EEEEEEvT0_
		.amdhsa_group_segment_fixed_size 0
		.amdhsa_private_segment_fixed_size 0
		.amdhsa_kernarg_size 896
		.amdhsa_user_sgpr_count 15
		.amdhsa_user_sgpr_dispatch_ptr 0
		.amdhsa_user_sgpr_queue_ptr 0
		.amdhsa_user_sgpr_kernarg_segment_ptr 1
		.amdhsa_user_sgpr_dispatch_id 0
		.amdhsa_user_sgpr_private_segment_size 0
		.amdhsa_wavefront_size32 1
		.amdhsa_uses_dynamic_stack 0
		.amdhsa_enable_private_segment 0
		.amdhsa_system_sgpr_workgroup_id_x 1
		.amdhsa_system_sgpr_workgroup_id_y 0
		.amdhsa_system_sgpr_workgroup_id_z 0
		.amdhsa_system_sgpr_workgroup_info 0
		.amdhsa_system_vgpr_workitem_id 0
		.amdhsa_next_free_vgpr 22
		.amdhsa_next_free_sgpr 46
		.amdhsa_reserve_vcc 1
		.amdhsa_float_round_mode_32 0
		.amdhsa_float_round_mode_16_64 0
		.amdhsa_float_denorm_mode_32 3
		.amdhsa_float_denorm_mode_16_64 3
		.amdhsa_dx10_clamp 1
		.amdhsa_ieee_mode 1
		.amdhsa_fp16_overflow 0
		.amdhsa_workgroup_processor_mode 1
		.amdhsa_memory_ordered 1
		.amdhsa_forward_progress 0
		.amdhsa_shared_vgpr_count 0
		.amdhsa_exception_fp_ieee_invalid_op 0
		.amdhsa_exception_fp_denorm_src 0
		.amdhsa_exception_fp_ieee_div_zero 0
		.amdhsa_exception_fp_ieee_overflow 0
		.amdhsa_exception_fp_ieee_underflow 0
		.amdhsa_exception_fp_ieee_inexact 0
		.amdhsa_exception_int_div_zero 0
	.end_amdhsa_kernel
	.section	.text._ZN4RAJA8internal22HipKernelLauncherFixedILi256ENS0_8LoopDataIN4camp5tupleIJNS_4SpanINS_9Iterators16numeric_iteratorIllPlEElEESA_NS5_INS6_24strided_numeric_iteratorIllS8_EElEEEEENS4_IJEEENS3_9resources2v13HipEJZN8rajaperf9polybench13POLYBENCH_ADI17runHipVariantImplILm256EEEvNSJ_9VariantIDEEUllE1_ZNSM_ILm256EEEvSN_EUlllE_ZNSM_ILm256EEEvSN_EUllE2_ZNSM_ILm256EEEvSN_EUlllE0_EEENS0_24HipStatementListExecutorISS_NS3_4listIJNS_9statement3ForILl0ENS_6policy3hip11hip_indexerINS_17iteration_mapping6DirectELNS_23kernel_sync_requirementE0EJNS_3hip11IndexGlobalILNS_9named_dimE0ELi256ELi0EEEEEEJNSV_6LambdaILl0EJNSU_IJNS0_9LambdaArgINS0_16lambda_arg_seg_tELl0EEEEEEEEENSW_ILl1ENSX_10sequential8seq_execEJNS18_ILl1EJNSU_IJS1B_NS19_IS1A_Ll1EEEEEEEEEEEENS18_ILl2EJS1C_EEENSW_ILl2ES1F_JNS18_ILl3EJNSU_IJS1B_NS19_IS1A_Ll2EEEEEEEEEEEEEEEEEENS0_9LoopTypesINSU_IJvvvEEES1S_EEEEEEvT0_,"axG",@progbits,_ZN4RAJA8internal22HipKernelLauncherFixedILi256ENS0_8LoopDataIN4camp5tupleIJNS_4SpanINS_9Iterators16numeric_iteratorIllPlEElEESA_NS5_INS6_24strided_numeric_iteratorIllS8_EElEEEEENS4_IJEEENS3_9resources2v13HipEJZN8rajaperf9polybench13POLYBENCH_ADI17runHipVariantImplILm256EEEvNSJ_9VariantIDEEUllE1_ZNSM_ILm256EEEvSN_EUlllE_ZNSM_ILm256EEEvSN_EUllE2_ZNSM_ILm256EEEvSN_EUlllE0_EEENS0_24HipStatementListExecutorISS_NS3_4listIJNS_9statement3ForILl0ENS_6policy3hip11hip_indexerINS_17iteration_mapping6DirectELNS_23kernel_sync_requirementE0EJNS_3hip11IndexGlobalILNS_9named_dimE0ELi256ELi0EEEEEEJNSV_6LambdaILl0EJNSU_IJNS0_9LambdaArgINS0_16lambda_arg_seg_tELl0EEEEEEEEENSW_ILl1ENSX_10sequential8seq_execEJNS18_ILl1EJNSU_IJS1B_NS19_IS1A_Ll1EEEEEEEEEEEENS18_ILl2EJS1C_EEENSW_ILl2ES1F_JNS18_ILl3EJNSU_IJS1B_NS19_IS1A_Ll2EEEEEEEEEEEEEEEEEENS0_9LoopTypesINSU_IJvvvEEES1S_EEEEEEvT0_,comdat
.Lfunc_end4:
	.size	_ZN4RAJA8internal22HipKernelLauncherFixedILi256ENS0_8LoopDataIN4camp5tupleIJNS_4SpanINS_9Iterators16numeric_iteratorIllPlEElEESA_NS5_INS6_24strided_numeric_iteratorIllS8_EElEEEEENS4_IJEEENS3_9resources2v13HipEJZN8rajaperf9polybench13POLYBENCH_ADI17runHipVariantImplILm256EEEvNSJ_9VariantIDEEUllE1_ZNSM_ILm256EEEvSN_EUlllE_ZNSM_ILm256EEEvSN_EUllE2_ZNSM_ILm256EEEvSN_EUlllE0_EEENS0_24HipStatementListExecutorISS_NS3_4listIJNS_9statement3ForILl0ENS_6policy3hip11hip_indexerINS_17iteration_mapping6DirectELNS_23kernel_sync_requirementE0EJNS_3hip11IndexGlobalILNS_9named_dimE0ELi256ELi0EEEEEEJNSV_6LambdaILl0EJNSU_IJNS0_9LambdaArgINS0_16lambda_arg_seg_tELl0EEEEEEEEENSW_ILl1ENSX_10sequential8seq_execEJNS18_ILl1EJNSU_IJS1B_NS19_IS1A_Ll1EEEEEEEEEEEENS18_ILl2EJS1C_EEENSW_ILl2ES1F_JNS18_ILl3EJNSU_IJS1B_NS19_IS1A_Ll2EEEEEEEEEEEEEEEEEENS0_9LoopTypesINSU_IJvvvEEES1S_EEEEEEvT0_, .Lfunc_end4-_ZN4RAJA8internal22HipKernelLauncherFixedILi256ENS0_8LoopDataIN4camp5tupleIJNS_4SpanINS_9Iterators16numeric_iteratorIllPlEElEESA_NS5_INS6_24strided_numeric_iteratorIllS8_EElEEEEENS4_IJEEENS3_9resources2v13HipEJZN8rajaperf9polybench13POLYBENCH_ADI17runHipVariantImplILm256EEEvNSJ_9VariantIDEEUllE1_ZNSM_ILm256EEEvSN_EUlllE_ZNSM_ILm256EEEvSN_EUllE2_ZNSM_ILm256EEEvSN_EUlllE0_EEENS0_24HipStatementListExecutorISS_NS3_4listIJNS_9statement3ForILl0ENS_6policy3hip11hip_indexerINS_17iteration_mapping6DirectELNS_23kernel_sync_requirementE0EJNS_3hip11IndexGlobalILNS_9named_dimE0ELi256ELi0EEEEEEJNSV_6LambdaILl0EJNSU_IJNS0_9LambdaArgINS0_16lambda_arg_seg_tELl0EEEEEEEEENSW_ILl1ENSX_10sequential8seq_execEJNS18_ILl1EJNSU_IJS1B_NS19_IS1A_Ll1EEEEEEEEEEEENS18_ILl2EJS1C_EEENSW_ILl2ES1F_JNS18_ILl3EJNSU_IJS1B_NS19_IS1A_Ll2EEEEEEEEEEEEEEEEEENS0_9LoopTypesINSU_IJvvvEEES1S_EEEEEEvT0_
                                        ; -- End function
	.section	.AMDGPU.csdata,"",@progbits
; Kernel info:
; codeLenInByte = 2548
; NumSgprs: 48
; NumVgprs: 22
; ScratchSize: 0
; MemoryBound: 1
; FloatMode: 240
; IeeeMode: 1
; LDSByteSize: 0 bytes/workgroup (compile time only)
; SGPRBlocks: 5
; VGPRBlocks: 2
; NumSGPRsForWavesPerEU: 48
; NumVGPRsForWavesPerEU: 22
; Occupancy: 16
; WaveLimiterHint : 0
; COMPUTE_PGM_RSRC2:SCRATCH_EN: 0
; COMPUTE_PGM_RSRC2:USER_SGPR: 15
; COMPUTE_PGM_RSRC2:TRAP_HANDLER: 0
; COMPUTE_PGM_RSRC2:TGID_X_EN: 1
; COMPUTE_PGM_RSRC2:TGID_Y_EN: 0
; COMPUTE_PGM_RSRC2:TGID_Z_EN: 0
; COMPUTE_PGM_RSRC2:TIDIG_COMP_CNT: 0
	.section	.text._ZN4RAJA8internal22HipKernelLauncherFixedILi256ENS0_8LoopDataIN4camp5tupleIJNS_4SpanINS_9Iterators16numeric_iteratorIllPlEElEESA_NS5_INS6_24strided_numeric_iteratorIllS8_EElEEEEENS4_IJEEENS3_9resources2v13HipEJZN8rajaperf9polybench13POLYBENCH_ADI17runHipVariantImplILm256EEEvNSJ_9VariantIDEEUllE3_ZNSM_ILm256EEEvSN_EUlllE1_ZNSM_ILm256EEEvSN_EUllE4_ZNSM_ILm256EEEvSN_EUlllE2_EEENS0_24HipStatementListExecutorISS_NS3_4listIJNS_9statement3ForILl0ENS_6policy3hip11hip_indexerINS_17iteration_mapping6DirectELNS_23kernel_sync_requirementE0EJNS_3hip11IndexGlobalILNS_9named_dimE0ELi256ELi0EEEEEEJNSV_6LambdaILl0EJNSU_IJNS0_9LambdaArgINS0_16lambda_arg_seg_tELl0EEEEEEEEENSW_ILl1ENSX_10sequential8seq_execEJNS18_ILl1EJNSU_IJS1B_NS19_IS1A_Ll1EEEEEEEEEEEENS18_ILl2EJS1C_EEENSW_ILl2ES1F_JNS18_ILl3EJNSU_IJS1B_NS19_IS1A_Ll2EEEEEEEEEEEEEEEEEENS0_9LoopTypesINSU_IJvvvEEES1S_EEEEEEvT0_,"axG",@progbits,_ZN4RAJA8internal22HipKernelLauncherFixedILi256ENS0_8LoopDataIN4camp5tupleIJNS_4SpanINS_9Iterators16numeric_iteratorIllPlEElEESA_NS5_INS6_24strided_numeric_iteratorIllS8_EElEEEEENS4_IJEEENS3_9resources2v13HipEJZN8rajaperf9polybench13POLYBENCH_ADI17runHipVariantImplILm256EEEvNSJ_9VariantIDEEUllE3_ZNSM_ILm256EEEvSN_EUlllE1_ZNSM_ILm256EEEvSN_EUllE4_ZNSM_ILm256EEEvSN_EUlllE2_EEENS0_24HipStatementListExecutorISS_NS3_4listIJNS_9statement3ForILl0ENS_6policy3hip11hip_indexerINS_17iteration_mapping6DirectELNS_23kernel_sync_requirementE0EJNS_3hip11IndexGlobalILNS_9named_dimE0ELi256ELi0EEEEEEJNSV_6LambdaILl0EJNSU_IJNS0_9LambdaArgINS0_16lambda_arg_seg_tELl0EEEEEEEEENSW_ILl1ENSX_10sequential8seq_execEJNS18_ILl1EJNSU_IJS1B_NS19_IS1A_Ll1EEEEEEEEEEEENS18_ILl2EJS1C_EEENSW_ILl2ES1F_JNS18_ILl3EJNSU_IJS1B_NS19_IS1A_Ll2EEEEEEEEEEEEEEEEEENS0_9LoopTypesINSU_IJvvvEEES1S_EEEEEEvT0_,comdat
	.protected	_ZN4RAJA8internal22HipKernelLauncherFixedILi256ENS0_8LoopDataIN4camp5tupleIJNS_4SpanINS_9Iterators16numeric_iteratorIllPlEElEESA_NS5_INS6_24strided_numeric_iteratorIllS8_EElEEEEENS4_IJEEENS3_9resources2v13HipEJZN8rajaperf9polybench13POLYBENCH_ADI17runHipVariantImplILm256EEEvNSJ_9VariantIDEEUllE3_ZNSM_ILm256EEEvSN_EUlllE1_ZNSM_ILm256EEEvSN_EUllE4_ZNSM_ILm256EEEvSN_EUlllE2_EEENS0_24HipStatementListExecutorISS_NS3_4listIJNS_9statement3ForILl0ENS_6policy3hip11hip_indexerINS_17iteration_mapping6DirectELNS_23kernel_sync_requirementE0EJNS_3hip11IndexGlobalILNS_9named_dimE0ELi256ELi0EEEEEEJNSV_6LambdaILl0EJNSU_IJNS0_9LambdaArgINS0_16lambda_arg_seg_tELl0EEEEEEEEENSW_ILl1ENSX_10sequential8seq_execEJNS18_ILl1EJNSU_IJS1B_NS19_IS1A_Ll1EEEEEEEEEEEENS18_ILl2EJS1C_EEENSW_ILl2ES1F_JNS18_ILl3EJNSU_IJS1B_NS19_IS1A_Ll2EEEEEEEEEEEEEEEEEENS0_9LoopTypesINSU_IJvvvEEES1S_EEEEEEvT0_ ; -- Begin function _ZN4RAJA8internal22HipKernelLauncherFixedILi256ENS0_8LoopDataIN4camp5tupleIJNS_4SpanINS_9Iterators16numeric_iteratorIllPlEElEESA_NS5_INS6_24strided_numeric_iteratorIllS8_EElEEEEENS4_IJEEENS3_9resources2v13HipEJZN8rajaperf9polybench13POLYBENCH_ADI17runHipVariantImplILm256EEEvNSJ_9VariantIDEEUllE3_ZNSM_ILm256EEEvSN_EUlllE1_ZNSM_ILm256EEEvSN_EUllE4_ZNSM_ILm256EEEvSN_EUlllE2_EEENS0_24HipStatementListExecutorISS_NS3_4listIJNS_9statement3ForILl0ENS_6policy3hip11hip_indexerINS_17iteration_mapping6DirectELNS_23kernel_sync_requirementE0EJNS_3hip11IndexGlobalILNS_9named_dimE0ELi256ELi0EEEEEEJNSV_6LambdaILl0EJNSU_IJNS0_9LambdaArgINS0_16lambda_arg_seg_tELl0EEEEEEEEENSW_ILl1ENSX_10sequential8seq_execEJNS18_ILl1EJNSU_IJS1B_NS19_IS1A_Ll1EEEEEEEEEEEENS18_ILl2EJS1C_EEENSW_ILl2ES1F_JNS18_ILl3EJNSU_IJS1B_NS19_IS1A_Ll2EEEEEEEEEEEEEEEEEENS0_9LoopTypesINSU_IJvvvEEES1S_EEEEEEvT0_
	.globl	_ZN4RAJA8internal22HipKernelLauncherFixedILi256ENS0_8LoopDataIN4camp5tupleIJNS_4SpanINS_9Iterators16numeric_iteratorIllPlEElEESA_NS5_INS6_24strided_numeric_iteratorIllS8_EElEEEEENS4_IJEEENS3_9resources2v13HipEJZN8rajaperf9polybench13POLYBENCH_ADI17runHipVariantImplILm256EEEvNSJ_9VariantIDEEUllE3_ZNSM_ILm256EEEvSN_EUlllE1_ZNSM_ILm256EEEvSN_EUllE4_ZNSM_ILm256EEEvSN_EUlllE2_EEENS0_24HipStatementListExecutorISS_NS3_4listIJNS_9statement3ForILl0ENS_6policy3hip11hip_indexerINS_17iteration_mapping6DirectELNS_23kernel_sync_requirementE0EJNS_3hip11IndexGlobalILNS_9named_dimE0ELi256ELi0EEEEEEJNSV_6LambdaILl0EJNSU_IJNS0_9LambdaArgINS0_16lambda_arg_seg_tELl0EEEEEEEEENSW_ILl1ENSX_10sequential8seq_execEJNS18_ILl1EJNSU_IJS1B_NS19_IS1A_Ll1EEEEEEEEEEEENS18_ILl2EJS1C_EEENSW_ILl2ES1F_JNS18_ILl3EJNSU_IJS1B_NS19_IS1A_Ll2EEEEEEEEEEEEEEEEEENS0_9LoopTypesINSU_IJvvvEEES1S_EEEEEEvT0_
	.p2align	8
	.type	_ZN4RAJA8internal22HipKernelLauncherFixedILi256ENS0_8LoopDataIN4camp5tupleIJNS_4SpanINS_9Iterators16numeric_iteratorIllPlEElEESA_NS5_INS6_24strided_numeric_iteratorIllS8_EElEEEEENS4_IJEEENS3_9resources2v13HipEJZN8rajaperf9polybench13POLYBENCH_ADI17runHipVariantImplILm256EEEvNSJ_9VariantIDEEUllE3_ZNSM_ILm256EEEvSN_EUlllE1_ZNSM_ILm256EEEvSN_EUllE4_ZNSM_ILm256EEEvSN_EUlllE2_EEENS0_24HipStatementListExecutorISS_NS3_4listIJNS_9statement3ForILl0ENS_6policy3hip11hip_indexerINS_17iteration_mapping6DirectELNS_23kernel_sync_requirementE0EJNS_3hip11IndexGlobalILNS_9named_dimE0ELi256ELi0EEEEEEJNSV_6LambdaILl0EJNSU_IJNS0_9LambdaArgINS0_16lambda_arg_seg_tELl0EEEEEEEEENSW_ILl1ENSX_10sequential8seq_execEJNS18_ILl1EJNSU_IJS1B_NS19_IS1A_Ll1EEEEEEEEEEEENS18_ILl2EJS1C_EEENSW_ILl2ES1F_JNS18_ILl3EJNSU_IJS1B_NS19_IS1A_Ll2EEEEEEEEEEEEEEEEEENS0_9LoopTypesINSU_IJvvvEEES1S_EEEEEEvT0_,@function
_ZN4RAJA8internal22HipKernelLauncherFixedILi256ENS0_8LoopDataIN4camp5tupleIJNS_4SpanINS_9Iterators16numeric_iteratorIllPlEElEESA_NS5_INS6_24strided_numeric_iteratorIllS8_EElEEEEENS4_IJEEENS3_9resources2v13HipEJZN8rajaperf9polybench13POLYBENCH_ADI17runHipVariantImplILm256EEEvNSJ_9VariantIDEEUllE3_ZNSM_ILm256EEEvSN_EUlllE1_ZNSM_ILm256EEEvSN_EUllE4_ZNSM_ILm256EEEvSN_EUlllE2_EEENS0_24HipStatementListExecutorISS_NS3_4listIJNS_9statement3ForILl0ENS_6policy3hip11hip_indexerINS_17iteration_mapping6DirectELNS_23kernel_sync_requirementE0EJNS_3hip11IndexGlobalILNS_9named_dimE0ELi256ELi0EEEEEEJNSV_6LambdaILl0EJNSU_IJNS0_9LambdaArgINS0_16lambda_arg_seg_tELl0EEEEEEEEENSW_ILl1ENSX_10sequential8seq_execEJNS18_ILl1EJNSU_IJS1B_NS19_IS1A_Ll1EEEEEEEEEEEENS18_ILl2EJS1C_EEENSW_ILl2ES1F_JNS18_ILl3EJNSU_IJS1B_NS19_IS1A_Ll2EEEEEEEEEEEEEEEEEENS0_9LoopTypesINSU_IJvvvEEES1S_EEEEEEvT0_: ; @_ZN4RAJA8internal22HipKernelLauncherFixedILi256ENS0_8LoopDataIN4camp5tupleIJNS_4SpanINS_9Iterators16numeric_iteratorIllPlEElEESA_NS5_INS6_24strided_numeric_iteratorIllS8_EElEEEEENS4_IJEEENS3_9resources2v13HipEJZN8rajaperf9polybench13POLYBENCH_ADI17runHipVariantImplILm256EEEvNSJ_9VariantIDEEUllE3_ZNSM_ILm256EEEvSN_EUlllE1_ZNSM_ILm256EEEvSN_EUllE4_ZNSM_ILm256EEEvSN_EUlllE2_EEENS0_24HipStatementListExecutorISS_NS3_4listIJNS_9statement3ForILl0ENS_6policy3hip11hip_indexerINS_17iteration_mapping6DirectELNS_23kernel_sync_requirementE0EJNS_3hip11IndexGlobalILNS_9named_dimE0ELi256ELi0EEEEEEJNSV_6LambdaILl0EJNSU_IJNS0_9LambdaArgINS0_16lambda_arg_seg_tELl0EEEEEEEEENSW_ILl1ENSX_10sequential8seq_execEJNS18_ILl1EJNSU_IJS1B_NS19_IS1A_Ll1EEEEEEEEEEEENS18_ILl2EJS1C_EEENSW_ILl2ES1F_JNS18_ILl3EJNSU_IJS1B_NS19_IS1A_Ll2EEEEEEEEEEEEEEEEEENS0_9LoopTypesINSU_IJvvvEEES1S_EEEEEEvT0_
; %bb.0:
	s_mov_b32 s2, s15
	s_load_b512 s[4:19], s[0:1], 0x0
	s_mov_b32 s3, 0
	s_waitcnt lgkmcnt(0)
	s_sub_u32 s6, s6, s4
	s_subb_u32 s7, s7, s5
	s_lshl_b64 s[2:3], s[2:3], 8
	s_delay_alu instid0(SALU_CYCLE_1) | instskip(SKIP_1) | instid1(VALU_DEP_1)
	v_or_b32_e32 v0, s2, v0
	v_mov_b32_e32 v1, s3
	v_cmp_gt_i64_e64 s2, s[6:7], v[0:1]
	s_delay_alu instid0(VALU_DEP_1)
	s_and_saveexec_b32 s3, s2
	s_cbranch_execz .LBB5_2
; %bb.1:
	s_clause 0x1
	s_load_b64 s[6:7], s[0:1], 0x70
	s_load_b64 s[20:21], s[0:1], 0xb8
	v_add_co_u32 v8, vcc_lo, s4, v0
	v_add_co_ci_u32_e32 v9, vcc_lo, s5, v1, vcc_lo
	s_clause 0x1
	s_load_b64 s[22:23], s[0:1], 0xa0
	s_load_b64 s[24:25], s[0:1], 0x58
	s_waitcnt lgkmcnt(0)
	v_mul_lo_u32 v6, s7, v8
	v_mul_lo_u32 v7, s6, v9
	v_mad_u64_u32 v[2:3], null, s6, v8, 0
	v_mul_lo_u32 v10, s21, v8
	v_mul_lo_u32 v11, s20, v9
	v_mad_u64_u32 v[4:5], null, s20, v8, 0
	s_delay_alu instid0(VALU_DEP_4) | instskip(SKIP_1) | instid1(VALU_DEP_3)
	v_add3_u32 v3, v3, v7, v6
	v_dual_mov_b32 v6, 0 :: v_dual_mov_b32 v7, 0x3ff00000
	v_add3_u32 v5, v5, v11, v10
	s_delay_alu instid0(VALU_DEP_3) | instskip(NEXT) | instid1(VALU_DEP_2)
	v_lshlrev_b64 v[2:3], 3, v[2:3]
	v_lshlrev_b64 v[4:5], 3, v[4:5]
	s_delay_alu instid0(VALU_DEP_2) | instskip(NEXT) | instid1(VALU_DEP_3)
	v_add_co_u32 v2, vcc_lo, s24, v2
	v_add_co_ci_u32_e32 v3, vcc_lo, s25, v3, vcc_lo
	s_delay_alu instid0(VALU_DEP_3) | instskip(NEXT) | instid1(VALU_DEP_4)
	v_add_co_u32 v4, vcc_lo, s22, v4
	v_add_co_ci_u32_e32 v5, vcc_lo, s23, v5, vcc_lo
	global_store_b64 v[2:3], v[6:7], off
	v_mov_b32_e32 v7, v6
	global_store_b64 v[4:5], v[6:7], off
	global_load_b64 v[2:3], v[2:3], off
	s_clause 0x1
	s_load_b64 s[6:7], s[0:1], 0x100
	s_load_b64 s[20:21], s[0:1], 0xe8
	s_waitcnt lgkmcnt(0)
	v_mul_lo_u32 v6, s7, v8
	v_mul_lo_u32 v7, s6, v9
	v_mad_u64_u32 v[4:5], null, s6, v8, 0
	s_delay_alu instid0(VALU_DEP_1) | instskip(NEXT) | instid1(VALU_DEP_1)
	v_add3_u32 v5, v5, v7, v6
	v_lshlrev_b64 v[4:5], 3, v[4:5]
	s_delay_alu instid0(VALU_DEP_1) | instskip(NEXT) | instid1(VALU_DEP_2)
	v_add_co_u32 v4, vcc_lo, s20, v4
	v_add_co_ci_u32_e32 v5, vcc_lo, s21, v5, vcc_lo
	s_waitcnt vmcnt(0)
	global_store_b64 v[4:5], v[2:3], off
.LBB5_2:
	s_or_b32 exec_lo, exec_lo, s3
	s_load_b128 s[28:31], s[0:1], 0x228
	s_sub_u32 s6, s10, s8
	s_subb_u32 s7, s11, s9
	s_delay_alu instid0(SALU_CYCLE_1) | instskip(NEXT) | instid1(VALU_DEP_1)
	v_cmp_lt_i64_e64 s3, s[6:7], 1
	s_and_b32 vcc_lo, exec_lo, s3
	s_cbranch_vccnz .LBB5_7
; %bb.3:
	s_load_b64 s[10:11], s[0:1], 0x1a8
	v_add_co_u32 v8, vcc_lo, s4, v0
	v_add_co_ci_u32_e32 v9, vcc_lo, s5, v1, vcc_lo
	s_clause 0x4
	s_load_b256 s[20:27], s[0:1], 0x178
	s_load_b64 s[34:35], s[0:1], 0x1f8
	s_load_b64 s[40:41], s[0:1], 0x148
	;; [unrolled: 1-line block ×3, first 2 shown]
	s_load_b128 s[36:39], s[0:1], 0x1d8
	s_lshl_b64 s[8:9], s[8:9], 3
	v_lshlrev_b64 v[2:3], 3, v[8:9]
	s_delay_alu instid0(VALU_DEP_1) | instskip(NEXT) | instid1(VALU_DEP_2)
	v_add_co_u32 v6, vcc_lo, v2, 8
	v_add_co_ci_u32_e32 v4, vcc_lo, 0, v3, vcc_lo
	v_add_co_u32 v14, vcc_lo, v8, -1
	s_waitcnt lgkmcnt(0)
	v_mul_lo_u32 v5, s11, v8
	v_mul_lo_u32 v7, s10, v9
	v_mad_u64_u32 v[2:3], null, s10, v8, 0
	v_mul_lo_u32 v13, s34, v4
	s_add_u32 s3, s26, s8
	s_addc_u32 s26, s27, s9
	s_add_u32 s10, s38, s8
	s_addc_u32 s11, s39, s9
	v_add_co_ci_u32_e32 v12, vcc_lo, -1, v9, vcc_lo
	s_delay_alu instid0(VALU_DEP_3)
	v_add3_u32 v3, v3, v7, v5
	v_mul_lo_u32 v15, s35, v6
	v_mul_lo_u32 v16, s41, v8
	;; [unrolled: 1-line block ×3, first 2 shown]
	v_mad_u64_u32 v[10:11], null, s40, v8, 0
	v_lshlrev_b64 v[4:5], 3, v[2:3]
	v_mad_u64_u32 v[2:3], null, s34, v6, s[10:11]
	v_mul_lo_u32 v18, s35, v8
	v_mul_lo_u32 v9, s34, v9
	s_delay_alu instid0(VALU_DEP_4)
	v_add_co_u32 v6, vcc_lo, s3, v4
	v_add_co_ci_u32_e32 v7, vcc_lo, s26, v5, vcc_lo
	v_fma_f64 v[4:5], s[36:37], 2.0, 1.0
	v_add3_u32 v3, v15, v3, v13
	v_add3_u32 v11, v11, v17, v16
	v_mul_lo_u32 v16, s35, v14
	v_mul_lo_u32 v17, s34, v12
	v_mad_u64_u32 v[12:13], null, s34, v14, 0
	v_mad_u64_u32 v[14:15], null, s34, v8, 0
	v_lshlrev_b64 v[10:11], 3, v[10:11]
	v_add_co_u32 v6, vcc_lo, v6, -8
	s_add_u32 s3, s42, s8
	s_delay_alu instid0(VALU_DEP_4)
	v_add3_u32 v13, v13, v17, v16
	v_add_co_ci_u32_e32 v7, vcc_lo, -1, v7, vcc_lo
	s_addc_u32 s8, s43, s9
	v_add_co_u32 v8, vcc_lo, s3, v10
	v_add3_u32 v15, v15, v9, v18
	v_add_co_ci_u32_e32 v16, vcc_lo, s8, v11, vcc_lo
	v_lshlrev_b64 v[10:11], 3, v[12:13]
	s_delay_alu instid0(VALU_DEP_4) | instskip(NEXT) | instid1(VALU_DEP_4)
	v_add_co_u32 v8, vcc_lo, v8, -8
	v_lshlrev_b64 v[12:13], 3, v[14:15]
	s_delay_alu instid0(VALU_DEP_4) | instskip(NEXT) | instid1(VALU_DEP_4)
	v_add_co_ci_u32_e32 v9, vcc_lo, -1, v16, vcc_lo
	v_add_co_u32 v10, vcc_lo, s10, v10
	v_add_co_ci_u32_e32 v11, vcc_lo, s11, v11, vcc_lo
	s_delay_alu instid0(VALU_DEP_4)
	v_add_co_u32 v12, vcc_lo, s10, v12
	v_add_co_ci_u32_e32 v13, vcc_lo, s11, v13, vcc_lo
	s_mov_b64 s[8:9], 0
	s_branch .LBB5_5
.LBB5_4:                                ;   in Loop: Header=BB5_5 Depth=1
	s_or_b32 exec_lo, exec_lo, s3
	v_add_co_u32 v6, vcc_lo, v6, 8
	v_add_co_ci_u32_e32 v7, vcc_lo, 0, v7, vcc_lo
	v_add_co_u32 v2, vcc_lo, v2, 8
	v_add_co_ci_u32_e32 v3, vcc_lo, 0, v3, vcc_lo
	v_add_co_u32 v8, vcc_lo, v8, 8
	s_add_u32 s8, s8, 1
	v_add_co_ci_u32_e32 v9, vcc_lo, 0, v9, vcc_lo
	s_addc_u32 s9, s9, 0
	v_add_co_u32 v10, vcc_lo, v10, 8
	v_cmp_lt_i64_e64 s3, s[8:9], s[6:7]
	v_add_co_ci_u32_e32 v11, vcc_lo, 0, v11, vcc_lo
	v_add_co_u32 v12, vcc_lo, v12, 8
	v_add_co_ci_u32_e32 v13, vcc_lo, 0, v13, vcc_lo
	s_delay_alu instid0(VALU_DEP_4)
	s_and_b32 vcc_lo, exec_lo, s3
	s_cbranch_vccz .LBB5_7
.LBB5_5:                                ; =>This Inner Loop Header: Depth=1
	s_and_saveexec_b32 s3, s2
	s_cbranch_execz .LBB5_4
; %bb.6:                                ;   in Loop: Header=BB5_5 Depth=1
	global_load_b64 v[14:15], v[8:9], off
	s_waitcnt vmcnt(0)
	v_fma_f64 v[14:15], s[22:23], v[14:15], s[24:25]
	s_delay_alu instid0(VALU_DEP_1) | instskip(SKIP_1) | instid1(VALU_DEP_2)
	v_div_scale_f64 v[16:17], null, v[14:15], v[14:15], -s[20:21]
	v_div_scale_f64 v[22:23], vcc_lo, -s[20:21], v[14:15], -s[20:21]
	v_rcp_f64_e32 v[18:19], v[16:17]
	s_waitcnt_depctr 0xfff
	v_fma_f64 v[20:21], -v[16:17], v[18:19], 1.0
	s_delay_alu instid0(VALU_DEP_1) | instskip(NEXT) | instid1(VALU_DEP_1)
	v_fma_f64 v[18:19], v[18:19], v[20:21], v[18:19]
	v_fma_f64 v[20:21], -v[16:17], v[18:19], 1.0
	s_delay_alu instid0(VALU_DEP_1) | instskip(NEXT) | instid1(VALU_DEP_1)
	v_fma_f64 v[18:19], v[18:19], v[20:21], v[18:19]
	v_mul_f64 v[20:21], v[22:23], v[18:19]
	s_delay_alu instid0(VALU_DEP_1) | instskip(NEXT) | instid1(VALU_DEP_1)
	v_fma_f64 v[16:17], -v[16:17], v[20:21], v[22:23]
	v_div_fmas_f64 v[16:17], v[16:17], v[18:19], v[20:21]
	s_delay_alu instid0(VALU_DEP_1)
	v_div_fixup_f64 v[16:17], v[16:17], v[14:15], -s[20:21]
	global_store_b64 v[8:9], v[16:17], off offset:8
	global_load_b64 v[16:17], v[10:11], off
	global_load_b64 v[18:19], v[12:13], off
	;; [unrolled: 1-line block ×4, first 2 shown]
	s_waitcnt vmcnt(3)
	v_mul_f64 v[16:17], s[36:37], v[16:17]
	s_waitcnt vmcnt(2)
	s_delay_alu instid0(VALU_DEP_1) | instskip(SKIP_1) | instid1(VALU_DEP_1)
	v_fma_f64 v[16:17], v[4:5], v[18:19], -v[16:17]
	s_waitcnt vmcnt(1)
	v_fma_f64 v[16:17], -s[28:29], v[20:21], v[16:17]
	s_waitcnt vmcnt(0)
	s_delay_alu instid0(VALU_DEP_1) | instskip(NEXT) | instid1(VALU_DEP_1)
	v_fma_f64 v[16:17], -s[22:23], v[22:23], v[16:17]
	v_div_scale_f64 v[18:19], null, v[14:15], v[14:15], v[16:17]
	s_delay_alu instid0(VALU_DEP_1) | instskip(SKIP_2) | instid1(VALU_DEP_1)
	v_rcp_f64_e32 v[20:21], v[18:19]
	s_waitcnt_depctr 0xfff
	v_fma_f64 v[22:23], -v[18:19], v[20:21], 1.0
	v_fma_f64 v[20:21], v[20:21], v[22:23], v[20:21]
	s_delay_alu instid0(VALU_DEP_1) | instskip(NEXT) | instid1(VALU_DEP_1)
	v_fma_f64 v[22:23], -v[18:19], v[20:21], 1.0
	v_fma_f64 v[20:21], v[20:21], v[22:23], v[20:21]
	v_div_scale_f64 v[22:23], vcc_lo, v[16:17], v[14:15], v[16:17]
	s_delay_alu instid0(VALU_DEP_1) | instskip(NEXT) | instid1(VALU_DEP_1)
	v_mul_f64 v[24:25], v[22:23], v[20:21]
	v_fma_f64 v[18:19], -v[18:19], v[24:25], v[22:23]
	s_delay_alu instid0(VALU_DEP_1) | instskip(NEXT) | instid1(VALU_DEP_1)
	v_div_fmas_f64 v[18:19], v[18:19], v[20:21], v[24:25]
	v_div_fixup_f64 v[14:15], v[18:19], v[14:15], v[16:17]
	global_store_b64 v[6:7], v[14:15], off offset:8
	s_branch .LBB5_4
.LBB5_7:
	s_load_b128 s[8:11], s[0:1], 0x278
	s_and_saveexec_b32 s3, s2
	s_cbranch_execz .LBB5_9
; %bb.8:
	s_load_b64 s[6:7], s[0:1], 0x248
	v_add_co_u32 v4, vcc_lo, s4, v0
	v_add_co_ci_u32_e32 v2, vcc_lo, s5, v1, vcc_lo
	s_waitcnt lgkmcnt(0)
	s_delay_alu instid0(VALU_DEP_2) | instskip(NEXT) | instid1(VALU_DEP_2)
	v_mul_lo_u32 v5, s7, v4
	v_mul_lo_u32 v6, s6, v2
	v_mad_u64_u32 v[2:3], null, s6, v4, 0
	s_lshl_b64 s[6:7], s[8:9], 3
	v_mov_b32_e32 v4, 0
	s_add_u32 s6, s6, s30
	s_addc_u32 s7, s7, s31
	s_delay_alu instid0(VALU_DEP_2) | instskip(SKIP_1) | instid1(VALU_DEP_2)
	v_add3_u32 v3, v3, v6, v5
	v_mov_b32_e32 v5, 0x3ff00000
	v_lshlrev_b64 v[2:3], 3, v[2:3]
	s_delay_alu instid0(VALU_DEP_1) | instskip(NEXT) | instid1(VALU_DEP_2)
	v_add_co_u32 v2, vcc_lo, s6, v2
	v_add_co_ci_u32_e32 v3, vcc_lo, s7, v3, vcc_lo
	global_store_b64 v[2:3], v[4:5], off offset:-8
.LBB5_9:
	s_or_b32 exec_lo, exec_lo, s3
	s_sub_u32 s6, s16, s12
	s_subb_u32 s7, s17, s13
	s_waitcnt lgkmcnt(0)
	s_or_b64 s[8:9], s[6:7], s[18:19]
	s_mov_b32 s8, 0
	s_delay_alu instid0(SALU_CYCLE_1)
	s_cmp_lg_u64 s[8:9], 0
	s_cbranch_scc0 .LBB5_18
; %bb.10:
	s_ashr_i32 s16, s19, 31
	s_delay_alu instid0(SALU_CYCLE_1) | instskip(SKIP_2) | instid1(SALU_CYCLE_1)
	s_add_u32 s20, s18, s16
	s_mov_b32 s17, s16
	s_addc_u32 s21, s19, s16
	s_xor_b64 s[20:21], s[20:21], s[16:17]
	s_delay_alu instid0(SALU_CYCLE_1) | instskip(SKIP_3) | instid1(VALU_DEP_1)
	v_cvt_f32_u32_e32 v2, s20
	v_cvt_f32_u32_e32 v3, s21
	s_sub_u32 s22, 0, s20
	s_subb_u32 s23, 0, s21
	v_fmamk_f32 v2, v3, 0x4f800000, v2
	s_delay_alu instid0(VALU_DEP_1) | instskip(SKIP_2) | instid1(VALU_DEP_1)
	v_rcp_f32_e32 v2, v2
	s_waitcnt_depctr 0xfff
	v_mul_f32_e32 v2, 0x5f7ffffc, v2
	v_mul_f32_e32 v3, 0x2f800000, v2
	s_delay_alu instid0(VALU_DEP_1) | instskip(NEXT) | instid1(VALU_DEP_1)
	v_trunc_f32_e32 v3, v3
	v_fmamk_f32 v2, v3, 0xcf800000, v2
	v_cvt_u32_f32_e32 v3, v3
	s_delay_alu instid0(VALU_DEP_2) | instskip(NEXT) | instid1(VALU_DEP_2)
	v_cvt_u32_f32_e32 v2, v2
	v_readfirstlane_b32 s3, v3
	s_delay_alu instid0(VALU_DEP_2) | instskip(NEXT) | instid1(VALU_DEP_2)
	v_readfirstlane_b32 s9, v2
	s_mul_i32 s24, s22, s3
	s_delay_alu instid0(VALU_DEP_1)
	s_mul_hi_u32 s26, s22, s9
	s_mul_i32 s25, s23, s9
	s_add_i32 s24, s26, s24
	s_mul_i32 s27, s22, s9
	s_add_i32 s24, s24, s25
	s_mul_hi_u32 s26, s9, s27
	s_mul_hi_u32 s28, s3, s27
	s_mul_i32 s25, s3, s27
	s_mul_hi_u32 s27, s9, s24
	s_mul_i32 s9, s9, s24
	s_mul_hi_u32 s29, s3, s24
	s_add_u32 s9, s26, s9
	s_addc_u32 s26, 0, s27
	s_add_u32 s9, s9, s25
	s_mul_i32 s24, s3, s24
	s_addc_u32 s9, s26, s28
	s_addc_u32 s25, s29, 0
	s_add_u32 s9, s9, s24
	s_addc_u32 s24, 0, s25
	v_add_co_u32 v2, s9, v2, s9
	s_delay_alu instid0(VALU_DEP_1) | instskip(SKIP_1) | instid1(VALU_DEP_1)
	s_cmp_lg_u32 s9, 0
	s_addc_u32 s3, s3, s24
	v_readfirstlane_b32 s9, v2
	s_mul_i32 s24, s22, s3
	s_delay_alu instid0(VALU_DEP_1)
	s_mul_hi_u32 s25, s22, s9
	s_mul_i32 s23, s23, s9
	s_add_i32 s24, s25, s24
	s_mul_i32 s22, s22, s9
	s_add_i32 s24, s24, s23
	s_mul_hi_u32 s25, s3, s22
	s_mul_i32 s26, s3, s22
	s_mul_hi_u32 s22, s9, s22
	s_mul_hi_u32 s27, s9, s24
	s_mul_i32 s9, s9, s24
	s_mul_hi_u32 s23, s3, s24
	s_add_u32 s9, s22, s9
	s_addc_u32 s22, 0, s27
	s_add_u32 s9, s9, s26
	s_mul_i32 s24, s3, s24
	s_addc_u32 s9, s22, s25
	s_addc_u32 s22, s23, 0
	s_add_u32 s9, s9, s24
	s_addc_u32 s22, 0, s22
	v_add_co_u32 v2, s9, v2, s9
	s_delay_alu instid0(VALU_DEP_1) | instskip(SKIP_2) | instid1(VALU_DEP_1)
	s_cmp_lg_u32 s9, 0
	s_addc_u32 s3, s3, s22
	s_ashr_i32 s22, s7, 31
	v_readfirstlane_b32 s9, v2
	s_add_u32 s24, s6, s22
	s_mov_b32 s23, s22
	s_addc_u32 s25, s7, s22
	s_delay_alu instid0(SALU_CYCLE_1) | instskip(NEXT) | instid1(SALU_CYCLE_1)
	s_xor_b64 s[24:25], s[24:25], s[22:23]
	s_mul_i32 s27, s24, s3
	s_mul_hi_u32 s28, s24, s9
	s_mul_hi_u32 s26, s24, s3
	s_mul_hi_u32 s30, s25, s9
	s_mul_i32 s9, s25, s9
	s_add_u32 s27, s28, s27
	s_addc_u32 s26, 0, s26
	s_mul_hi_u32 s29, s25, s3
	s_add_u32 s9, s27, s9
	s_mul_i32 s3, s25, s3
	s_addc_u32 s9, s26, s30
	s_addc_u32 s26, s29, 0
	s_add_u32 s3, s9, s3
	s_addc_u32 s9, 0, s26
	s_mul_i32 s29, s20, s3
	s_mul_hi_u32 s26, s20, s3
	s_mul_i32 s28, s20, s9
	v_sub_co_u32 v2, s24, s24, s29
	s_mul_i32 s27, s21, s3
	s_add_i32 s26, s26, s28
	s_delay_alu instid0(SALU_CYCLE_1) | instskip(NEXT) | instid1(VALU_DEP_1)
	s_add_i32 s26, s26, s27
	v_sub_co_u32 v3, s28, v2, s20
	s_sub_i32 s27, s25, s26
	s_cmp_lg_u32 s24, 0
	s_subb_u32 s27, s27, s21
	s_cmp_lg_u32 s28, 0
	v_readfirstlane_b32 s28, v3
	s_subb_u32 s27, s27, 0
	s_delay_alu instid0(SALU_CYCLE_1) | instskip(SKIP_1) | instid1(VALU_DEP_1)
	s_cmp_ge_u32 s27, s21
	s_cselect_b32 s29, -1, 0
	s_cmp_ge_u32 s28, s20
	s_cselect_b32 s28, -1, 0
	s_cmp_eq_u32 s27, s21
	s_cselect_b32 s27, s28, s29
	s_add_u32 s28, s3, 1
	s_addc_u32 s29, s9, 0
	s_add_u32 s30, s3, 2
	s_addc_u32 s31, s9, 0
	s_cmp_lg_u32 s27, 0
	s_cselect_b32 s27, s30, s28
	s_cselect_b32 s28, s31, s29
	s_cmp_lg_u32 s24, 0
	v_readfirstlane_b32 s24, v2
	s_subb_u32 s25, s25, s26
	s_delay_alu instid0(SALU_CYCLE_1) | instskip(SKIP_1) | instid1(VALU_DEP_1)
	s_cmp_ge_u32 s25, s21
	s_cselect_b32 s26, -1, 0
	s_cmp_ge_u32 s24, s20
	s_cselect_b32 s20, -1, 0
	s_cmp_eq_u32 s25, s21
	s_cselect_b32 s20, s20, s26
	s_delay_alu instid0(SALU_CYCLE_1) | instskip(SKIP_3) | instid1(SALU_CYCLE_1)
	s_cmp_lg_u32 s20, 0
	s_cselect_b32 s21, s28, s9
	s_cselect_b32 s20, s27, s3
	s_xor_b64 s[16:17], s[22:23], s[16:17]
	s_xor_b64 s[20:21], s[20:21], s[16:17]
	s_delay_alu instid0(SALU_CYCLE_1)
	s_sub_u32 s16, s20, s16
	s_subb_u32 s17, s21, s17
	s_and_not1_b32 vcc_lo, exec_lo, s8
	s_cbranch_vccnz .LBB5_12
.LBB5_11:
	v_cvt_f32_u32_e32 v2, s18
	s_sub_i32 s8, 0, s18
	s_mov_b32 s17, 0
	s_delay_alu instid0(VALU_DEP_1) | instskip(SKIP_2) | instid1(VALU_DEP_1)
	v_rcp_iflag_f32_e32 v2, v2
	s_waitcnt_depctr 0xfff
	v_mul_f32_e32 v2, 0x4f7ffffe, v2
	v_cvt_u32_f32_e32 v2, v2
	s_delay_alu instid0(VALU_DEP_1) | instskip(NEXT) | instid1(VALU_DEP_1)
	v_readfirstlane_b32 s3, v2
	s_mul_i32 s8, s8, s3
	s_delay_alu instid0(SALU_CYCLE_1) | instskip(NEXT) | instid1(SALU_CYCLE_1)
	s_mul_hi_u32 s8, s3, s8
	s_add_i32 s3, s3, s8
	s_delay_alu instid0(SALU_CYCLE_1) | instskip(NEXT) | instid1(SALU_CYCLE_1)
	s_mul_hi_u32 s3, s6, s3
	s_mul_i32 s8, s3, s18
	s_add_i32 s9, s3, 1
	s_sub_i32 s8, s6, s8
	s_delay_alu instid0(SALU_CYCLE_1)
	s_sub_i32 s16, s8, s18
	s_cmp_ge_u32 s8, s18
	s_cselect_b32 s3, s9, s3
	s_cselect_b32 s8, s16, s8
	s_add_i32 s9, s3, 1
	s_cmp_ge_u32 s8, s18
	s_cselect_b32 s16, s9, s3
.LBB5_12:
	s_delay_alu instid0(SALU_CYCLE_1) | instskip(SKIP_4) | instid1(SALU_CYCLE_1)
	s_mul_i32 s3, s16, s19
	s_mul_hi_u32 s8, s16, s18
	s_mul_i32 s9, s16, s18
	s_add_i32 s3, s8, s3
	s_mul_i32 s8, s17, s18
	s_add_i32 s3, s3, s8
	s_sub_u32 s6, s6, s9
	s_subb_u32 s7, s7, s3
	s_delay_alu instid0(SALU_CYCLE_1) | instskip(SKIP_1) | instid1(SALU_CYCLE_1)
	s_cmp_lg_u64 s[6:7], 0
	s_cselect_b32 s3, -1, 0
	v_cndmask_b32_e64 v2, 0, 1, s3
	s_delay_alu instid0(VALU_DEP_1) | instskip(NEXT) | instid1(VALU_DEP_1)
	v_add_co_u32 v2, s3, s16, v2
	v_add_co_ci_u32_e64 v3, null, s17, 0, s3
	s_delay_alu instid0(VALU_DEP_1)
	v_cmp_gt_i64_e32 vcc_lo, 1, v[2:3]
	s_cbranch_vccnz .LBB5_17
; %bb.13:
	s_clause 0x2
	s_load_b64 s[6:7], s[0:1], 0x2e0
	s_load_b64 s[8:9], s[0:1], 0x298
	;; [unrolled: 1-line block ×3, first 2 shown]
	v_add_co_u32 v8, vcc_lo, s4, v0
	v_add_co_ci_u32_e32 v6, vcc_lo, s5, v1, vcc_lo
	s_clause 0x1
	s_load_b64 s[4:5], s[0:1], 0x2c8
	s_load_b64 s[0:1], s[0:1], 0x310
	s_waitcnt lgkmcnt(0)
	v_mul_lo_u32 v9, s7, v8
	v_mul_lo_u32 v10, s6, v6
	v_mad_u64_u32 v[0:1], null, s6, v8, 0
	v_mul_lo_u32 v11, s9, v8
	v_mul_lo_u32 v12, s8, v6
	v_mad_u64_u32 v[4:5], null, s8, v8, 0
	;; [unrolled: 3-line block ×3, first 2 shown]
	v_add3_u32 v1, v1, v10, v9
	v_add3_u32 v5, v5, v12, v11
	s_delay_alu instid0(VALU_DEP_2) | instskip(NEXT) | instid1(VALU_DEP_4)
	v_lshlrev_b64 v[0:1], 3, v[0:1]
	v_add3_u32 v7, v7, v14, v13
	s_delay_alu instid0(VALU_DEP_3) | instskip(NEXT) | instid1(VALU_DEP_2)
	v_lshlrev_b64 v[4:5], 3, v[4:5]
	v_lshlrev_b64 v[6:7], 3, v[6:7]
	s_delay_alu instid0(VALU_DEP_4) | instskip(SKIP_1) | instid1(VALU_DEP_4)
	v_add_co_u32 v0, vcc_lo, s4, v0
	v_add_co_ci_u32_e32 v1, vcc_lo, s5, v1, vcc_lo
	v_add_co_u32 v4, vcc_lo, s10, v4
	v_add_co_ci_u32_e32 v5, vcc_lo, s11, v5, vcc_lo
	;; [unrolled: 2-line block ×3, first 2 shown]
	s_lshl_b64 s[0:1], s[12:13], 3
	s_lshl_b64 s[4:5], s[14:15], 3
	s_set_inst_prefetch_distance 0x1
	s_branch .LBB5_15
	.p2align	6
.LBB5_14:                               ;   in Loop: Header=BB5_15 Depth=1
	s_or_b32 exec_lo, exec_lo, s3
	v_add_co_u32 v2, vcc_lo, v2, -1
	v_add_co_ci_u32_e32 v3, vcc_lo, -1, v3, vcc_lo
	s_add_u32 s0, s0, s4
	s_addc_u32 s1, s1, s5
	s_delay_alu instid0(VALU_DEP_1)
	v_cmp_ne_u64_e32 vcc_lo, 0, v[2:3]
	s_cbranch_vccz .LBB5_17
.LBB5_15:                               ; =>This Inner Loop Header: Depth=1
	s_and_saveexec_b32 s3, s2
	s_cbranch_execz .LBB5_14
; %bb.16:                               ;   in Loop: Header=BB5_15 Depth=1
	v_add_co_u32 v8, vcc_lo, v0, s0
	v_add_co_ci_u32_e32 v9, vcc_lo, s1, v1, vcc_lo
	v_add_co_u32 v10, vcc_lo, v4, s0
	v_add_co_ci_u32_e32 v11, vcc_lo, s1, v5, vcc_lo
	v_add_co_u32 v12, vcc_lo, v6, s0
	v_add_co_ci_u32_e32 v13, vcc_lo, s1, v7, vcc_lo
	global_load_b64 v[8:9], v[8:9], off
	global_load_b64 v[14:15], v[10:11], off offset:8
	global_load_b64 v[12:13], v[12:13], off
	s_waitcnt vmcnt(0)
	v_fma_f64 v[8:9], v[8:9], v[14:15], v[12:13]
	global_store_b64 v[10:11], v[8:9], off
	s_branch .LBB5_14
.LBB5_17:
	s_set_inst_prefetch_distance 0x2
	s_nop 0
	s_sendmsg sendmsg(MSG_DEALLOC_VGPRS)
	s_endpgm
.LBB5_18:
                                        ; implicit-def: $sgpr16_sgpr17
	s_branch .LBB5_11
	.section	.rodata,"a",@progbits
	.p2align	6, 0x0
	.amdhsa_kernel _ZN4RAJA8internal22HipKernelLauncherFixedILi256ENS0_8LoopDataIN4camp5tupleIJNS_4SpanINS_9Iterators16numeric_iteratorIllPlEElEESA_NS5_INS6_24strided_numeric_iteratorIllS8_EElEEEEENS4_IJEEENS3_9resources2v13HipEJZN8rajaperf9polybench13POLYBENCH_ADI17runHipVariantImplILm256EEEvNSJ_9VariantIDEEUllE3_ZNSM_ILm256EEEvSN_EUlllE1_ZNSM_ILm256EEEvSN_EUllE4_ZNSM_ILm256EEEvSN_EUlllE2_EEENS0_24HipStatementListExecutorISS_NS3_4listIJNS_9statement3ForILl0ENS_6policy3hip11hip_indexerINS_17iteration_mapping6DirectELNS_23kernel_sync_requirementE0EJNS_3hip11IndexGlobalILNS_9named_dimE0ELi256ELi0EEEEEEJNSV_6LambdaILl0EJNSU_IJNS0_9LambdaArgINS0_16lambda_arg_seg_tELl0EEEEEEEEENSW_ILl1ENSX_10sequential8seq_execEJNS18_ILl1EJNSU_IJS1B_NS19_IS1A_Ll1EEEEEEEEEEEENS18_ILl2EJS1C_EEENSW_ILl2ES1F_JNS18_ILl3EJNSU_IJS1B_NS19_IS1A_Ll2EEEEEEEEEEEEEEEEEENS0_9LoopTypesINSU_IJvvvEEES1S_EEEEEEvT0_
		.amdhsa_group_segment_fixed_size 0
		.amdhsa_private_segment_fixed_size 0
		.amdhsa_kernarg_size 896
		.amdhsa_user_sgpr_count 15
		.amdhsa_user_sgpr_dispatch_ptr 0
		.amdhsa_user_sgpr_queue_ptr 0
		.amdhsa_user_sgpr_kernarg_segment_ptr 1
		.amdhsa_user_sgpr_dispatch_id 0
		.amdhsa_user_sgpr_private_segment_size 0
		.amdhsa_wavefront_size32 1
		.amdhsa_uses_dynamic_stack 0
		.amdhsa_enable_private_segment 0
		.amdhsa_system_sgpr_workgroup_id_x 1
		.amdhsa_system_sgpr_workgroup_id_y 0
		.amdhsa_system_sgpr_workgroup_id_z 0
		.amdhsa_system_sgpr_workgroup_info 0
		.amdhsa_system_vgpr_workitem_id 0
		.amdhsa_next_free_vgpr 26
		.amdhsa_next_free_sgpr 44
		.amdhsa_reserve_vcc 1
		.amdhsa_float_round_mode_32 0
		.amdhsa_float_round_mode_16_64 0
		.amdhsa_float_denorm_mode_32 3
		.amdhsa_float_denorm_mode_16_64 3
		.amdhsa_dx10_clamp 1
		.amdhsa_ieee_mode 1
		.amdhsa_fp16_overflow 0
		.amdhsa_workgroup_processor_mode 1
		.amdhsa_memory_ordered 1
		.amdhsa_forward_progress 0
		.amdhsa_shared_vgpr_count 0
		.amdhsa_exception_fp_ieee_invalid_op 0
		.amdhsa_exception_fp_denorm_src 0
		.amdhsa_exception_fp_ieee_div_zero 0
		.amdhsa_exception_fp_ieee_overflow 0
		.amdhsa_exception_fp_ieee_underflow 0
		.amdhsa_exception_fp_ieee_inexact 0
		.amdhsa_exception_int_div_zero 0
	.end_amdhsa_kernel
	.section	.text._ZN4RAJA8internal22HipKernelLauncherFixedILi256ENS0_8LoopDataIN4camp5tupleIJNS_4SpanINS_9Iterators16numeric_iteratorIllPlEElEESA_NS5_INS6_24strided_numeric_iteratorIllS8_EElEEEEENS4_IJEEENS3_9resources2v13HipEJZN8rajaperf9polybench13POLYBENCH_ADI17runHipVariantImplILm256EEEvNSJ_9VariantIDEEUllE3_ZNSM_ILm256EEEvSN_EUlllE1_ZNSM_ILm256EEEvSN_EUllE4_ZNSM_ILm256EEEvSN_EUlllE2_EEENS0_24HipStatementListExecutorISS_NS3_4listIJNS_9statement3ForILl0ENS_6policy3hip11hip_indexerINS_17iteration_mapping6DirectELNS_23kernel_sync_requirementE0EJNS_3hip11IndexGlobalILNS_9named_dimE0ELi256ELi0EEEEEEJNSV_6LambdaILl0EJNSU_IJNS0_9LambdaArgINS0_16lambda_arg_seg_tELl0EEEEEEEEENSW_ILl1ENSX_10sequential8seq_execEJNS18_ILl1EJNSU_IJS1B_NS19_IS1A_Ll1EEEEEEEEEEEENS18_ILl2EJS1C_EEENSW_ILl2ES1F_JNS18_ILl3EJNSU_IJS1B_NS19_IS1A_Ll2EEEEEEEEEEEEEEEEEENS0_9LoopTypesINSU_IJvvvEEES1S_EEEEEEvT0_,"axG",@progbits,_ZN4RAJA8internal22HipKernelLauncherFixedILi256ENS0_8LoopDataIN4camp5tupleIJNS_4SpanINS_9Iterators16numeric_iteratorIllPlEElEESA_NS5_INS6_24strided_numeric_iteratorIllS8_EElEEEEENS4_IJEEENS3_9resources2v13HipEJZN8rajaperf9polybench13POLYBENCH_ADI17runHipVariantImplILm256EEEvNSJ_9VariantIDEEUllE3_ZNSM_ILm256EEEvSN_EUlllE1_ZNSM_ILm256EEEvSN_EUllE4_ZNSM_ILm256EEEvSN_EUlllE2_EEENS0_24HipStatementListExecutorISS_NS3_4listIJNS_9statement3ForILl0ENS_6policy3hip11hip_indexerINS_17iteration_mapping6DirectELNS_23kernel_sync_requirementE0EJNS_3hip11IndexGlobalILNS_9named_dimE0ELi256ELi0EEEEEEJNSV_6LambdaILl0EJNSU_IJNS0_9LambdaArgINS0_16lambda_arg_seg_tELl0EEEEEEEEENSW_ILl1ENSX_10sequential8seq_execEJNS18_ILl1EJNSU_IJS1B_NS19_IS1A_Ll1EEEEEEEEEEEENS18_ILl2EJS1C_EEENSW_ILl2ES1F_JNS18_ILl3EJNSU_IJS1B_NS19_IS1A_Ll2EEEEEEEEEEEEEEEEEENS0_9LoopTypesINSU_IJvvvEEES1S_EEEEEEvT0_,comdat
.Lfunc_end5:
	.size	_ZN4RAJA8internal22HipKernelLauncherFixedILi256ENS0_8LoopDataIN4camp5tupleIJNS_4SpanINS_9Iterators16numeric_iteratorIllPlEElEESA_NS5_INS6_24strided_numeric_iteratorIllS8_EElEEEEENS4_IJEEENS3_9resources2v13HipEJZN8rajaperf9polybench13POLYBENCH_ADI17runHipVariantImplILm256EEEvNSJ_9VariantIDEEUllE3_ZNSM_ILm256EEEvSN_EUlllE1_ZNSM_ILm256EEEvSN_EUllE4_ZNSM_ILm256EEEvSN_EUlllE2_EEENS0_24HipStatementListExecutorISS_NS3_4listIJNS_9statement3ForILl0ENS_6policy3hip11hip_indexerINS_17iteration_mapping6DirectELNS_23kernel_sync_requirementE0EJNS_3hip11IndexGlobalILNS_9named_dimE0ELi256ELi0EEEEEEJNSV_6LambdaILl0EJNSU_IJNS0_9LambdaArgINS0_16lambda_arg_seg_tELl0EEEEEEEEENSW_ILl1ENSX_10sequential8seq_execEJNS18_ILl1EJNSU_IJS1B_NS19_IS1A_Ll1EEEEEEEEEEEENS18_ILl2EJS1C_EEENSW_ILl2ES1F_JNS18_ILl3EJNSU_IJS1B_NS19_IS1A_Ll2EEEEEEEEEEEEEEEEEENS0_9LoopTypesINSU_IJvvvEEES1S_EEEEEEvT0_, .Lfunc_end5-_ZN4RAJA8internal22HipKernelLauncherFixedILi256ENS0_8LoopDataIN4camp5tupleIJNS_4SpanINS_9Iterators16numeric_iteratorIllPlEElEESA_NS5_INS6_24strided_numeric_iteratorIllS8_EElEEEEENS4_IJEEENS3_9resources2v13HipEJZN8rajaperf9polybench13POLYBENCH_ADI17runHipVariantImplILm256EEEvNSJ_9VariantIDEEUllE3_ZNSM_ILm256EEEvSN_EUlllE1_ZNSM_ILm256EEEvSN_EUllE4_ZNSM_ILm256EEEvSN_EUlllE2_EEENS0_24HipStatementListExecutorISS_NS3_4listIJNS_9statement3ForILl0ENS_6policy3hip11hip_indexerINS_17iteration_mapping6DirectELNS_23kernel_sync_requirementE0EJNS_3hip11IndexGlobalILNS_9named_dimE0ELi256ELi0EEEEEEJNSV_6LambdaILl0EJNSU_IJNS0_9LambdaArgINS0_16lambda_arg_seg_tELl0EEEEEEEEENSW_ILl1ENSX_10sequential8seq_execEJNS18_ILl1EJNSU_IJS1B_NS19_IS1A_Ll1EEEEEEEEEEEENS18_ILl2EJS1C_EEENSW_ILl2ES1F_JNS18_ILl3EJNSU_IJS1B_NS19_IS1A_Ll2EEEEEEEEEEEEEEEEEENS0_9LoopTypesINSU_IJvvvEEES1S_EEEEEEvT0_
                                        ; -- End function
	.section	.AMDGPU.csdata,"",@progbits
; Kernel info:
; codeLenInByte = 2684
; NumSgprs: 46
; NumVgprs: 26
; ScratchSize: 0
; MemoryBound: 1
; FloatMode: 240
; IeeeMode: 1
; LDSByteSize: 0 bytes/workgroup (compile time only)
; SGPRBlocks: 5
; VGPRBlocks: 3
; NumSGPRsForWavesPerEU: 46
; NumVGPRsForWavesPerEU: 26
; Occupancy: 16
; WaveLimiterHint : 0
; COMPUTE_PGM_RSRC2:SCRATCH_EN: 0
; COMPUTE_PGM_RSRC2:USER_SGPR: 15
; COMPUTE_PGM_RSRC2:TRAP_HANDLER: 0
; COMPUTE_PGM_RSRC2:TGID_X_EN: 1
; COMPUTE_PGM_RSRC2:TGID_Y_EN: 0
; COMPUTE_PGM_RSRC2:TGID_Z_EN: 0
; COMPUTE_PGM_RSRC2:TIDIG_COMP_CNT: 0
	.text
	.p2alignl 7, 3214868480
	.fill 96, 4, 3214868480
	.type	__hip_cuid_f67cdd85e39f2f69,@object ; @__hip_cuid_f67cdd85e39f2f69
	.section	.bss,"aw",@nobits
	.globl	__hip_cuid_f67cdd85e39f2f69
__hip_cuid_f67cdd85e39f2f69:
	.byte	0                               ; 0x0
	.size	__hip_cuid_f67cdd85e39f2f69, 1

	.ident	"AMD clang version 19.0.0git (https://github.com/RadeonOpenCompute/llvm-project roc-6.4.0 25133 c7fe45cf4b819c5991fe208aaa96edf142730f1d)"
	.section	".note.GNU-stack","",@progbits
	.addrsig
	.addrsig_sym __hip_cuid_f67cdd85e39f2f69
	.amdgpu_metadata
---
amdhsa.kernels:
  - .args:
      - .offset:         0
        .size:           8
        .value_kind:     by_value
      - .offset:         8
        .size:           8
        .value_kind:     by_value
      - .offset:         16
        .size:           8
        .value_kind:     by_value
      - .offset:         24
        .size:           8
        .value_kind:     by_value
      - .offset:         32
        .size:           8
        .value_kind:     by_value
      - .offset:         40
        .size:           8
        .value_kind:     by_value
      - .address_space:  global
        .offset:         48
        .size:           8
        .value_kind:     global_buffer
      - .address_space:  global
        .offset:         56
        .size:           8
        .value_kind:     global_buffer
      - .address_space:  global
        .offset:         64
        .size:           8
        .value_kind:     global_buffer
      - .address_space:  global
        .offset:         72
        .size:           8
        .value_kind:     global_buffer
    .group_segment_fixed_size: 0
    .kernarg_segment_align: 8
    .kernarg_segment_size: 80
    .language:       OpenCL C
    .language_version:
      - 2
      - 0
    .max_flat_workgroup_size: 256
    .name:           _ZN8rajaperf9polybench9poly_adi1ILm256EEEvldddddPdS2_S2_S2_
    .private_segment_fixed_size: 0
    .sgpr_count:     38
    .sgpr_spill_count: 0
    .symbol:         _ZN8rajaperf9polybench9poly_adi1ILm256EEEvldddddPdS2_S2_S2_.kd
    .uniform_work_group_size: 1
    .uses_dynamic_stack: false
    .vgpr_count:     27
    .vgpr_spill_count: 0
    .wavefront_size: 32
    .workgroup_processor_mode: 1
  - .args:
      - .offset:         0
        .size:           8
        .value_kind:     by_value
      - .offset:         8
        .size:           8
        .value_kind:     by_value
      - .offset:         16
        .size:           8
        .value_kind:     by_value
      - .offset:         24
        .size:           8
        .value_kind:     by_value
      - .offset:         32
        .size:           8
        .value_kind:     by_value
      - .offset:         40
        .size:           8
        .value_kind:     by_value
      - .address_space:  global
        .offset:         48
        .size:           8
        .value_kind:     global_buffer
      - .address_space:  global
        .offset:         56
        .size:           8
        .value_kind:     global_buffer
      - .address_space:  global
        .offset:         64
        .size:           8
        .value_kind:     global_buffer
      - .address_space:  global
        .offset:         72
        .size:           8
        .value_kind:     global_buffer
    .group_segment_fixed_size: 0
    .kernarg_segment_align: 8
    .kernarg_segment_size: 80
    .language:       OpenCL C
    .language_version:
      - 2
      - 0
    .max_flat_workgroup_size: 256
    .name:           _ZN8rajaperf9polybench9poly_adi2ILm256EEEvldddddPdS2_S2_S2_
    .private_segment_fixed_size: 0
    .sgpr_count:     31
    .sgpr_spill_count: 0
    .symbol:         _ZN8rajaperf9polybench9poly_adi2ILm256EEEvldddddPdS2_S2_S2_.kd
    .uniform_work_group_size: 1
    .uses_dynamic_stack: false
    .vgpr_count:     31
    .vgpr_spill_count: 0
    .wavefront_size: 32
    .workgroup_processor_mode: 1
  - .args:
      - .offset:         0
        .size:           8
        .value_kind:     by_value
      - .offset:         8
        .size:           80
        .value_kind:     by_value
    .group_segment_fixed_size: 0
    .kernarg_segment_align: 8
    .kernarg_segment_size: 88
    .language:       OpenCL C
    .language_version:
      - 2
      - 0
    .max_flat_workgroup_size: 256
    .name:           _ZN8rajaperf9polybench12poly_adi_lamILm256EZNS0_13POLYBENCH_ADI17runHipVariantImplILm256EEEvNS_9VariantIDEEUllE_EEvlT0_
    .private_segment_fixed_size: 0
    .sgpr_count:     38
    .sgpr_spill_count: 0
    .symbol:         _ZN8rajaperf9polybench12poly_adi_lamILm256EZNS0_13POLYBENCH_ADI17runHipVariantImplILm256EEEvNS_9VariantIDEEUllE_EEvlT0_.kd
    .uniform_work_group_size: 1
    .uses_dynamic_stack: false
    .vgpr_count:     27
    .vgpr_spill_count: 0
    .wavefront_size: 32
    .workgroup_processor_mode: 1
  - .args:
      - .offset:         0
        .size:           8
        .value_kind:     by_value
      - .offset:         8
        .size:           80
        .value_kind:     by_value
    .group_segment_fixed_size: 0
    .kernarg_segment_align: 8
    .kernarg_segment_size: 88
    .language:       OpenCL C
    .language_version:
      - 2
      - 0
    .max_flat_workgroup_size: 256
    .name:           _ZN8rajaperf9polybench12poly_adi_lamILm256EZNS0_13POLYBENCH_ADI17runHipVariantImplILm256EEEvNS_9VariantIDEEUllE0_EEvlT0_
    .private_segment_fixed_size: 0
    .sgpr_count:     34
    .sgpr_spill_count: 0
    .symbol:         _ZN8rajaperf9polybench12poly_adi_lamILm256EZNS0_13POLYBENCH_ADI17runHipVariantImplILm256EEEvNS_9VariantIDEEUllE0_EEvlT0_.kd
    .uniform_work_group_size: 1
    .uses_dynamic_stack: false
    .vgpr_count:     29
    .vgpr_spill_count: 0
    .wavefront_size: 32
    .workgroup_processor_mode: 1
  - .args:
      - .offset:         0
        .size:           896
        .value_kind:     by_value
    .group_segment_fixed_size: 0
    .kernarg_segment_align: 8
    .kernarg_segment_size: 896
    .language:       OpenCL C
    .language_version:
      - 2
      - 0
    .max_flat_workgroup_size: 256
    .name:           _ZN4RAJA8internal22HipKernelLauncherFixedILi256ENS0_8LoopDataIN4camp5tupleIJNS_4SpanINS_9Iterators16numeric_iteratorIllPlEElEESA_NS5_INS6_24strided_numeric_iteratorIllS8_EElEEEEENS4_IJEEENS3_9resources2v13HipEJZN8rajaperf9polybench13POLYBENCH_ADI17runHipVariantImplILm256EEEvNSJ_9VariantIDEEUllE1_ZNSM_ILm256EEEvSN_EUlllE_ZNSM_ILm256EEEvSN_EUllE2_ZNSM_ILm256EEEvSN_EUlllE0_EEENS0_24HipStatementListExecutorISS_NS3_4listIJNS_9statement3ForILl0ENS_6policy3hip11hip_indexerINS_17iteration_mapping6DirectELNS_23kernel_sync_requirementE0EJNS_3hip11IndexGlobalILNS_9named_dimE0ELi256ELi0EEEEEEJNSV_6LambdaILl0EJNSU_IJNS0_9LambdaArgINS0_16lambda_arg_seg_tELl0EEEEEEEEENSW_ILl1ENSX_10sequential8seq_execEJNS18_ILl1EJNSU_IJS1B_NS19_IS1A_Ll1EEEEEEEEEEEENS18_ILl2EJS1C_EEENSW_ILl2ES1F_JNS18_ILl3EJNSU_IJS1B_NS19_IS1A_Ll2EEEEEEEEEEEEEEEEEENS0_9LoopTypesINSU_IJvvvEEES1S_EEEEEEvT0_
    .private_segment_fixed_size: 0
    .sgpr_count:     48
    .sgpr_spill_count: 0
    .symbol:         _ZN4RAJA8internal22HipKernelLauncherFixedILi256ENS0_8LoopDataIN4camp5tupleIJNS_4SpanINS_9Iterators16numeric_iteratorIllPlEElEESA_NS5_INS6_24strided_numeric_iteratorIllS8_EElEEEEENS4_IJEEENS3_9resources2v13HipEJZN8rajaperf9polybench13POLYBENCH_ADI17runHipVariantImplILm256EEEvNSJ_9VariantIDEEUllE1_ZNSM_ILm256EEEvSN_EUlllE_ZNSM_ILm256EEEvSN_EUllE2_ZNSM_ILm256EEEvSN_EUlllE0_EEENS0_24HipStatementListExecutorISS_NS3_4listIJNS_9statement3ForILl0ENS_6policy3hip11hip_indexerINS_17iteration_mapping6DirectELNS_23kernel_sync_requirementE0EJNS_3hip11IndexGlobalILNS_9named_dimE0ELi256ELi0EEEEEEJNSV_6LambdaILl0EJNSU_IJNS0_9LambdaArgINS0_16lambda_arg_seg_tELl0EEEEEEEEENSW_ILl1ENSX_10sequential8seq_execEJNS18_ILl1EJNSU_IJS1B_NS19_IS1A_Ll1EEEEEEEEEEEENS18_ILl2EJS1C_EEENSW_ILl2ES1F_JNS18_ILl3EJNSU_IJS1B_NS19_IS1A_Ll2EEEEEEEEEEEEEEEEEENS0_9LoopTypesINSU_IJvvvEEES1S_EEEEEEvT0_.kd
    .uniform_work_group_size: 1
    .uses_dynamic_stack: false
    .vgpr_count:     22
    .vgpr_spill_count: 0
    .wavefront_size: 32
    .workgroup_processor_mode: 1
  - .args:
      - .offset:         0
        .size:           896
        .value_kind:     by_value
    .group_segment_fixed_size: 0
    .kernarg_segment_align: 8
    .kernarg_segment_size: 896
    .language:       OpenCL C
    .language_version:
      - 2
      - 0
    .max_flat_workgroup_size: 256
    .name:           _ZN4RAJA8internal22HipKernelLauncherFixedILi256ENS0_8LoopDataIN4camp5tupleIJNS_4SpanINS_9Iterators16numeric_iteratorIllPlEElEESA_NS5_INS6_24strided_numeric_iteratorIllS8_EElEEEEENS4_IJEEENS3_9resources2v13HipEJZN8rajaperf9polybench13POLYBENCH_ADI17runHipVariantImplILm256EEEvNSJ_9VariantIDEEUllE3_ZNSM_ILm256EEEvSN_EUlllE1_ZNSM_ILm256EEEvSN_EUllE4_ZNSM_ILm256EEEvSN_EUlllE2_EEENS0_24HipStatementListExecutorISS_NS3_4listIJNS_9statement3ForILl0ENS_6policy3hip11hip_indexerINS_17iteration_mapping6DirectELNS_23kernel_sync_requirementE0EJNS_3hip11IndexGlobalILNS_9named_dimE0ELi256ELi0EEEEEEJNSV_6LambdaILl0EJNSU_IJNS0_9LambdaArgINS0_16lambda_arg_seg_tELl0EEEEEEEEENSW_ILl1ENSX_10sequential8seq_execEJNS18_ILl1EJNSU_IJS1B_NS19_IS1A_Ll1EEEEEEEEEEEENS18_ILl2EJS1C_EEENSW_ILl2ES1F_JNS18_ILl3EJNSU_IJS1B_NS19_IS1A_Ll2EEEEEEEEEEEEEEEEEENS0_9LoopTypesINSU_IJvvvEEES1S_EEEEEEvT0_
    .private_segment_fixed_size: 0
    .sgpr_count:     46
    .sgpr_spill_count: 0
    .symbol:         _ZN4RAJA8internal22HipKernelLauncherFixedILi256ENS0_8LoopDataIN4camp5tupleIJNS_4SpanINS_9Iterators16numeric_iteratorIllPlEElEESA_NS5_INS6_24strided_numeric_iteratorIllS8_EElEEEEENS4_IJEEENS3_9resources2v13HipEJZN8rajaperf9polybench13POLYBENCH_ADI17runHipVariantImplILm256EEEvNSJ_9VariantIDEEUllE3_ZNSM_ILm256EEEvSN_EUlllE1_ZNSM_ILm256EEEvSN_EUllE4_ZNSM_ILm256EEEvSN_EUlllE2_EEENS0_24HipStatementListExecutorISS_NS3_4listIJNS_9statement3ForILl0ENS_6policy3hip11hip_indexerINS_17iteration_mapping6DirectELNS_23kernel_sync_requirementE0EJNS_3hip11IndexGlobalILNS_9named_dimE0ELi256ELi0EEEEEEJNSV_6LambdaILl0EJNSU_IJNS0_9LambdaArgINS0_16lambda_arg_seg_tELl0EEEEEEEEENSW_ILl1ENSX_10sequential8seq_execEJNS18_ILl1EJNSU_IJS1B_NS19_IS1A_Ll1EEEEEEEEEEEENS18_ILl2EJS1C_EEENSW_ILl2ES1F_JNS18_ILl3EJNSU_IJS1B_NS19_IS1A_Ll2EEEEEEEEEEEEEEEEEENS0_9LoopTypesINSU_IJvvvEEES1S_EEEEEEvT0_.kd
    .uniform_work_group_size: 1
    .uses_dynamic_stack: false
    .vgpr_count:     26
    .vgpr_spill_count: 0
    .wavefront_size: 32
    .workgroup_processor_mode: 1
amdhsa.target:   amdgcn-amd-amdhsa--gfx1100
amdhsa.version:
  - 1
  - 2
...

	.end_amdgpu_metadata
